;; amdgpu-corpus repo=ROCm/rocFFT kind=compiled arch=gfx1201 opt=O3
	.text
	.amdgcn_target "amdgcn-amd-amdhsa--gfx1201"
	.amdhsa_code_object_version 6
	.protected	bluestein_single_back_len130_dim1_dp_op_CI_CI ; -- Begin function bluestein_single_back_len130_dim1_dp_op_CI_CI
	.globl	bluestein_single_back_len130_dim1_dp_op_CI_CI
	.p2align	8
	.type	bluestein_single_back_len130_dim1_dp_op_CI_CI,@function
bluestein_single_back_len130_dim1_dp_op_CI_CI: ; @bluestein_single_back_len130_dim1_dp_op_CI_CI
; %bb.0:
	s_load_b128 s[8:11], s[0:1], 0x28
	v_mul_u32_u24_e32 v1, 0x13b2, v0
	v_mov_b32_e32 v89, 0
	s_mov_b32 s2, exec_lo
	s_delay_alu instid0(VALU_DEP_2) | instskip(NEXT) | instid1(VALU_DEP_1)
	v_lshrrev_b32_e32 v1, 16, v1
	v_lshl_add_u32 v88, ttmp9, 2, v1
	s_wait_kmcnt 0x0
	s_delay_alu instid0(VALU_DEP_1)
	v_cmpx_gt_u64_e64 s[8:9], v[88:89]
	s_cbranch_execz .LBB0_15
; %bb.1:
	v_mul_lo_u16 v2, v1, 13
	s_clause 0x1
	s_load_b64 s[12:13], s[0:1], 0x0
	s_load_b64 s[8:9], s[0:1], 0x38
	v_and_b32_e32 v1, 3, v1
	v_sub_nc_u16 v0, v0, v2
	s_delay_alu instid0(VALU_DEP_2) | instskip(NEXT) | instid1(VALU_DEP_2)
	v_mul_u32_u24_e32 v190, 0x82, v1
	v_and_b32_e32 v186, 0xffff, v0
	v_cmp_gt_u16_e32 vcc_lo, 10, v0
	s_delay_alu instid0(VALU_DEP_3) | instskip(NEXT) | instid1(VALU_DEP_3)
	v_lshlrev_b32_e32 v188, 4, v190
	v_lshlrev_b32_e32 v187, 4, v186
	v_or_b32_e32 v185, 0x50, v186
	s_and_saveexec_b32 s3, vcc_lo
	s_cbranch_execz .LBB0_3
; %bb.2:
	s_load_b64 s[4:5], s[0:1], 0x18
	s_wait_kmcnt 0x0
	s_load_b128 s[4:7], s[4:5], 0x0
	s_wait_kmcnt 0x0
	v_mad_co_u64_u32 v[0:1], null, s6, v88, 0
	v_mad_co_u64_u32 v[2:3], null, s4, v186, 0
	;; [unrolled: 1-line block ×3, first 2 shown]
	s_delay_alu instid0(VALU_DEP_2) | instskip(SKIP_1) | instid1(VALU_DEP_1)
	v_mad_co_u64_u32 v[4:5], null, s7, v88, v[1:2]
	s_mul_u64 s[6:7], s[4:5], 0xa0
	v_mad_co_u64_u32 v[5:6], null, s5, v186, v[3:4]
	v_mov_b32_e32 v1, v4
	s_delay_alu instid0(VALU_DEP_1) | instskip(NEXT) | instid1(VALU_DEP_3)
	v_lshlrev_b64_e32 v[0:1], 4, v[0:1]
	v_mov_b32_e32 v3, v5
	s_delay_alu instid0(VALU_DEP_2) | instskip(NEXT) | instid1(VALU_DEP_2)
	v_add_co_u32 v26, s2, s10, v0
	v_lshlrev_b64_e32 v[2:3], 4, v[2:3]
	s_delay_alu instid0(VALU_DEP_4) | instskip(SKIP_1) | instid1(VALU_DEP_3)
	v_add_co_ci_u32_e64 v27, s2, s11, v1, s2
	v_mov_b32_e32 v0, v17
	v_add_co_u32 v44, s2, v26, v2
	s_wait_alu 0xf1ff
	s_delay_alu instid0(VALU_DEP_3) | instskip(NEXT) | instid1(VALU_DEP_3)
	v_add_co_ci_u32_e64 v45, s2, v27, v3, s2
	v_mad_co_u64_u32 v[8:9], null, s5, v185, v[0:1]
	s_wait_alu 0xfffe
	v_add_co_u32 v48, s2, v44, s6
	s_wait_alu 0xf1ff
	v_add_co_ci_u32_e64 v49, s2, s7, v45, s2
	s_clause 0x1
	global_load_b128 v[0:3], v187, s[12:13]
	global_load_b128 v[4:7], v187, s[12:13] offset:160
	v_add_co_u32 v52, s2, v48, s6
	s_wait_alu 0xf1ff
	v_add_co_ci_u32_e64 v53, s2, s7, v49, s2
	v_mov_b32_e32 v17, v8
	s_delay_alu instid0(VALU_DEP_3) | instskip(SKIP_1) | instid1(VALU_DEP_3)
	v_add_co_u32 v56, s2, v52, s6
	s_wait_alu 0xf1ff
	v_add_co_ci_u32_e64 v57, s2, s7, v53, s2
	s_delay_alu instid0(VALU_DEP_3) | instskip(NEXT) | instid1(VALU_DEP_3)
	v_lshlrev_b64_e32 v[24:25], 4, v[16:17]
	v_add_co_u32 v60, s2, v56, s6
	s_wait_alu 0xf1ff
	s_delay_alu instid0(VALU_DEP_3)
	v_add_co_ci_u32_e64 v61, s2, s7, v57, s2
	s_clause 0x1
	global_load_b128 v[8:11], v187, s[12:13] offset:320
	global_load_b128 v[12:15], v187, s[12:13] offset:480
	v_add_co_u32 v64, s2, v60, s6
	s_wait_alu 0xf1ff
	v_add_co_ci_u32_e64 v65, s2, s7, v61, s2
	s_clause 0x1
	global_load_b128 v[16:19], v187, s[12:13] offset:640
	global_load_b128 v[20:23], v187, s[12:13] offset:800
	v_add_co_u32 v68, s2, v64, s6
	s_wait_alu 0xf1ff
	v_add_co_ci_u32_e64 v69, s2, s7, v65, s2
	s_delay_alu instid0(VALU_DEP_2) | instskip(SKIP_1) | instid1(VALU_DEP_2)
	v_add_co_u32 v72, s2, v68, s6
	s_wait_alu 0xf1ff
	v_add_co_ci_u32_e64 v73, s2, s7, v69, s2
	v_add_co_u32 v40, s2, v26, v24
	s_wait_alu 0xf1ff
	v_add_co_ci_u32_e64 v41, s2, v27, v25, s2
	s_delay_alu instid0(VALU_DEP_3)
	v_mad_co_u64_u32 v[76:77], null, 0x140, s4, v[72:73]
	s_clause 0x3
	global_load_b128 v[24:27], v187, s[12:13] offset:960
	global_load_b128 v[28:31], v187, s[12:13] offset:1120
	;; [unrolled: 1-line block ×4, first 2 shown]
	global_load_b128 v[40:43], v[40:41], off
	v_mov_b32_e32 v46, v77
	v_add_co_u32 v80, s2, v76, s6
	s_delay_alu instid0(VALU_DEP_2)
	v_mad_co_u64_u32 v[74:75], null, 0x140, s5, v[46:47]
	s_clause 0x4
	global_load_b128 v[44:47], v[44:45], off
	global_load_b128 v[48:51], v[48:49], off
	;; [unrolled: 1-line block ×7, first 2 shown]
	v_mov_b32_e32 v77, v74
	global_load_b128 v[72:75], v[72:73], off
	s_wait_alu 0xf1ff
	v_add_co_ci_u32_e64 v81, s2, s7, v77, s2
	v_add_co_u32 v93, s2, v80, s6
	global_load_b128 v[76:79], v[76:77], off
	s_wait_alu 0xf1ff
	v_add_co_ci_u32_e64 v94, s2, s7, v81, s2
	v_add_co_u32 v101, s2, v93, s6
	global_load_b128 v[80:83], v[80:81], off
	s_wait_alu 0xf1ff
	v_add_co_ci_u32_e64 v102, s2, s7, v94, s2
	s_clause 0x1
	global_load_b128 v[84:87], v187, s[12:13] offset:1600
	global_load_b128 v[89:92], v187, s[12:13] offset:1760
	global_load_b128 v[93:96], v[93:94], off
	global_load_b128 v[97:100], v187, s[12:13] offset:1920
	global_load_b128 v[101:104], v[101:102], off
	s_wait_loadcnt 0xf
	v_mul_f64_e32 v[107:108], v[42:43], v[34:35]
	v_mul_f64_e32 v[34:35], v[40:41], v[34:35]
	s_wait_loadcnt 0xe
	v_mul_f64_e32 v[105:106], v[46:47], v[2:3]
	v_mul_f64_e32 v[2:3], v[44:45], v[2:3]
	;; [unrolled: 3-line block ×13, first 2 shown]
	v_fma_f64 v[44:45], v[44:45], v[0:1], v[105:106]
	v_fma_f64 v[46:47], v[46:47], v[0:1], -v[2:3]
	v_fma_f64 v[0:1], v[40:41], v[32:33], v[107:108]
	v_fma_f64 v[2:3], v[42:43], v[32:33], -v[34:35]
	;; [unrolled: 2-line block ×9, first 2 shown]
	v_lshl_add_u32 v28, v186, 4, v188
	v_add_nc_u32_e32 v29, v188, v187
	v_fma_f64 v[34:35], v[76:77], v[36:37], v[125:126]
	v_fma_f64 v[36:37], v[78:79], v[36:37], -v[38:39]
	v_fma_f64 v[38:39], v[80:81], v[84:85], v[127:128]
	v_fma_f64 v[40:41], v[82:83], v[84:85], -v[86:87]
	;; [unrolled: 2-line block ×4, first 2 shown]
	ds_store_b128 v28, v[44:47]
	ds_store_b128 v29, v[30:33] offset:160
	ds_store_b128 v29, v[4:7] offset:320
	;; [unrolled: 1-line block ×12, first 2 shown]
.LBB0_3:
	s_or_b32 exec_lo, exec_lo, s3
	s_load_b64 s[2:3], s[0:1], 0x20
	global_wb scope:SCOPE_SE
	s_wait_dscnt 0x0
	s_wait_kmcnt 0x0
	s_barrier_signal -1
	s_barrier_wait -1
	global_inv scope:SCOPE_SE
                                        ; implicit-def: $vgpr28_vgpr29
                                        ; implicit-def: $vgpr48_vgpr49
                                        ; implicit-def: $vgpr52_vgpr53
                                        ; implicit-def: $vgpr56_vgpr57
                                        ; implicit-def: $vgpr60_vgpr61
                                        ; implicit-def: $vgpr44_vgpr45
                                        ; implicit-def: $vgpr40_vgpr41
                                        ; implicit-def: $vgpr36_vgpr37
                                        ; implicit-def: $vgpr32_vgpr33
                                        ; implicit-def: $vgpr24_vgpr25
                                        ; implicit-def: $vgpr20_vgpr21
                                        ; implicit-def: $vgpr16_vgpr17
                                        ; implicit-def: $vgpr12_vgpr13
	s_and_saveexec_b32 s4, vcc_lo
	s_cbranch_execz .LBB0_5
; %bb.4:
	v_lshl_add_u32 v0, v190, 4, v187
	ds_load_b128 v[28:31], v0
	ds_load_b128 v[48:51], v0 offset:160
	ds_load_b128 v[52:55], v0 offset:320
	;; [unrolled: 1-line block ×12, first 2 shown]
.LBB0_5:
	s_wait_alu 0xfffe
	s_or_b32 exec_lo, exec_lo, s4
	s_wait_dscnt 0x0
	v_add_f64_e64 v[89:90], v[50:51], -v[14:15]
	v_add_f64_e64 v[68:69], v[48:49], -v[12:13]
	s_mov_b32 s4, 0x4267c47c
	s_mov_b32 s6, 0x42a4c3d2
	;; [unrolled: 1-line block ×6, first 2 shown]
	v_add_f64_e32 v[66:67], v[48:49], v[12:13]
	v_add_f64_e32 v[86:87], v[50:51], v[14:15]
	v_add_f64_e64 v[64:65], v[54:55], -v[18:19]
	v_add_f64_e64 v[70:71], v[52:53], -v[16:17]
	s_mov_b32 s20, 0xe00740e9
	s_mov_b32 s14, 0x1ea71119
	;; [unrolled: 1-line block ×10, first 2 shown]
	v_add_f64_e32 v[103:104], v[52:53], v[16:17]
	v_add_f64_e32 v[155:156], v[54:55], v[18:19]
	v_add_f64_e64 v[157:158], v[58:59], -v[22:23]
	v_add_f64_e64 v[165:166], v[56:57], -v[20:21]
	s_mov_b32 s22, 0xb2365da1
	s_mov_b32 s28, 0x93053d00
	s_mov_b32 s23, 0xbfd6b1d8
	s_mov_b32 s29, 0xbfef11f4
	s_mov_b32 s27, 0x3fedeba7
	s_mov_b32 s26, s16
	v_add_f64_e32 v[147:148], v[56:57], v[20:21]
	v_add_f64_e32 v[179:180], v[58:59], v[22:23]
	v_add_f64_e64 v[80:81], v[60:61], -v[24:25]
	v_add_f64_e64 v[123:124], v[62:63], -v[26:27]
	s_mov_b32 s38, 0x24c2f84
	s_mov_b32 s39, 0x3fe5384d
	s_wait_alu 0xfffe
	v_mul_f64_e32 v[72:73], s[4:5], v[89:90]
	v_mul_f64_e32 v[74:75], s[4:5], v[68:69]
	;; [unrolled: 1-line block ×6, first 2 shown]
	s_mov_b32 s35, 0x3fddbe06
	s_mov_b32 s34, s4
	v_add_f64_e32 v[97:98], v[60:61], v[24:25]
	v_add_f64_e32 v[177:178], v[62:63], v[26:27]
	v_mul_f64_e32 v[113:114], s[6:7], v[64:65]
	v_mul_f64_e32 v[131:132], s[6:7], v[70:71]
	;; [unrolled: 1-line block ×6, first 2 shown]
	v_add_f64_e64 v[82:83], v[44:45], -v[32:33]
	v_add_f64_e64 v[139:140], v[46:47], -v[34:35]
	s_mov_b32 s36, 0xd0032e0c
	s_mov_b32 s41, 0xbfe5384d
	;; [unrolled: 1-line block ×6, first 2 shown]
	v_mul_f64_e32 v[149:150], s[10:11], v[157:158]
	v_mul_f64_e32 v[153:154], s[10:11], v[165:166]
	;; [unrolled: 1-line block ×6, first 2 shown]
	v_add_f64_e32 v[163:164], v[46:47], v[34:35]
	v_add_f64_e64 v[151:152], v[42:43], -v[38:39]
	s_load_b64 s[0:1], s[0:1], 0x8
	v_mul_lo_u16 v189, v186, 13
	v_mul_f64_e32 v[121:122], s[16:17], v[80:81]
	v_mul_f64_e32 v[117:118], s[16:17], v[123:124]
	v_mul_f64_e32 v[127:128], s[38:39], v[123:124]
	v_mul_f64_e32 v[133:134], s[38:39], v[80:81]
	v_fma_f64 v[0:1], v[66:67], s[20:21], v[72:73]
	v_fma_f64 v[2:3], v[86:87], s[20:21], -v[74:75]
	v_fma_f64 v[4:5], v[66:67], s[14:15], v[76:77]
	v_fma_f64 v[6:7], v[86:87], s[14:15], -v[84:85]
	;; [unrolled: 2-line block ×3, first 2 shown]
	v_mul_f64_e32 v[135:136], s[34:35], v[123:124]
	v_mul_f64_e32 v[141:142], s[34:35], v[80:81]
	global_wb scope:SCOPE_SE
	s_wait_kmcnt 0x0
	s_barrier_signal -1
	v_fma_f64 v[78:79], v[103:104], s[14:15], v[113:114]
	v_fma_f64 v[91:92], v[155:156], s[14:15], -v[131:132]
	v_fma_f64 v[93:94], v[103:104], s[22:23], v[143:144]
	v_fma_f64 v[95:96], v[155:156], s[22:23], -v[145:146]
	;; [unrolled: 2-line block ×3, first 2 shown]
	v_mul_f64_e32 v[111:112], s[40:41], v[82:83]
	v_mul_f64_e32 v[107:108], s[40:41], v[139:140]
	;; [unrolled: 1-line block ×6, first 2 shown]
	s_barrier_wait -1
	global_inv scope:SCOPE_SE
	v_fma_f64 v[105:106], v[147:148], s[18:19], v[149:150]
	v_fma_f64 v[109:110], v[179:180], s[18:19], -v[153:154]
	v_fma_f64 v[125:126], v[147:148], s[28:29], v[159:160]
	v_fma_f64 v[167:168], v[179:180], s[28:29], -v[175:176]
	;; [unrolled: 2-line block ×3, first 2 shown]
	v_fma_f64 v[197:198], v[177:178], s[22:23], -v[121:122]
	v_fma_f64 v[195:196], v[97:98], s[22:23], v[117:118]
	v_fma_f64 v[199:200], v[97:98], s[36:37], v[127:128]
	v_fma_f64 v[201:202], v[177:178], s[36:37], -v[133:134]
	v_add_f64_e32 v[0:1], v[28:29], v[0:1]
	v_add_f64_e32 v[2:3], v[30:31], v[2:3]
	;; [unrolled: 1-line block ×6, first 2 shown]
	v_fma_f64 v[203:204], v[97:98], s[20:21], v[135:136]
	v_fma_f64 v[205:206], v[177:178], s[20:21], -v[141:142]
	v_fma_f64 v[209:210], v[163:164], s[18:19], -v[119:120]
	;; [unrolled: 1-line block ×3, first 2 shown]
	v_add_f64_e32 v[0:1], v[78:79], v[0:1]
	v_add_f64_e32 v[2:3], v[91:92], v[2:3]
	;; [unrolled: 1-line block ×7, first 2 shown]
	v_add_f64_e64 v[78:79], v[40:41], -v[36:37]
	v_add_f64_e32 v[93:94], v[40:41], v[36:37]
	v_mul_f64_e32 v[95:96], s[24:25], v[151:152]
	v_mul_f64_e32 v[101:102], s[34:35], v[151:152]
	v_add_f64_e32 v[0:1], v[105:106], v[0:1]
	v_add_f64_e32 v[2:3], v[109:110], v[2:3]
	v_add_f64_e32 v[4:5], v[125:126], v[4:5]
	v_add_f64_e32 v[6:7], v[167:168], v[6:7]
	v_add_f64_e32 v[8:9], v[191:192], v[8:9]
	v_add_f64_e32 v[10:11], v[193:194], v[10:11]
	v_add_f64_e32 v[167:168], v[42:43], v[38:39]
	v_mul_f64_e32 v[99:100], s[24:25], v[78:79]
	v_mul_f64_e32 v[105:106], s[34:35], v[78:79]
	;; [unrolled: 1-line block ×4, first 2 shown]
	v_fma_f64 v[191:192], v[91:92], s[36:37], v[107:108]
	v_fma_f64 v[193:194], v[163:164], s[36:37], -v[111:112]
	v_fma_f64 v[207:208], v[91:92], s[18:19], v[115:116]
	v_fma_f64 v[211:212], v[91:92], s[14:15], v[129:130]
	v_add_f64_e32 v[0:1], v[195:196], v[0:1]
	v_add_f64_e32 v[2:3], v[197:198], v[2:3]
	;; [unrolled: 1-line block ×6, first 2 shown]
	v_fma_f64 v[195:196], v[93:94], s[28:29], v[95:96]
	v_fma_f64 v[197:198], v[167:168], s[28:29], -v[99:100]
	v_fma_f64 v[199:200], v[93:94], s[20:21], v[101:102]
	v_fma_f64 v[201:202], v[167:168], s[20:21], -v[105:106]
	;; [unrolled: 2-line block ×3, first 2 shown]
	v_add_f64_e32 v[0:1], v[191:192], v[0:1]
	v_add_f64_e32 v[2:3], v[193:194], v[2:3]
	;; [unrolled: 1-line block ×12, first 2 shown]
	s_and_saveexec_b32 s33, vcc_lo
	s_cbranch_execz .LBB0_7
; %bb.6:
	v_add_f64_e32 v[50:51], v[30:31], v[50:51]
	v_add_f64_e32 v[48:49], v[28:29], v[48:49]
	v_mul_f64_e32 v[191:192], s[18:19], v[66:67]
	v_mul_f64_e32 v[193:194], s[14:15], v[86:87]
	v_mul_f64_e32 v[195:196], s[14:15], v[66:67]
	v_mul_f64_e32 v[197:198], s[20:21], v[66:67]
	v_mul_f64_e32 v[215:216], s[22:23], v[179:180]
	v_mul_f64_e32 v[213:214], s[22:23], v[147:148]
	s_mov_b32 s45, 0x3fcea1e5
	s_mov_b32 s44, s24
	v_mul_f64_e32 v[201:202], s[36:37], v[179:180]
	v_mul_f64_e32 v[203:204], s[20:21], v[155:156]
	v_mul_f64_e32 v[205:206], s[28:29], v[155:156]
	v_mul_f64_e32 v[209:210], s[14:15], v[179:180]
	v_mul_f64_e32 v[211:212], s[18:19], v[155:156]
	v_mul_f64_e32 v[221:222], s[36:37], v[155:156]
	v_mul_f64_e32 v[227:228], s[22:23], v[155:156]
	v_mul_f64_e32 v[229:230], s[28:29], v[179:180]
	v_mul_f64_e32 v[223:224], s[28:29], v[103:104]
	v_mul_f64_e32 v[155:156], s[14:15], v[155:156]
	s_mov_b32 s43, 0x3fea55e2
	s_mov_b32 s42, s6
	v_mul_f64_e32 v[199:200], s[14:15], v[177:178]
	v_mul_f64_e32 v[207:208], s[28:29], v[177:178]
	;; [unrolled: 1-line block ×5, first 2 shown]
	v_add_f64_e32 v[50:51], v[50:51], v[54:55]
	v_add_f64_e32 v[48:49], v[48:49], v[52:53]
	v_mul_f64_e32 v[52:53], s[28:29], v[86:87]
	v_mul_f64_e32 v[54:55], s[24:25], v[89:90]
	v_add_f64_e64 v[171:172], v[191:192], -v[171:172]
	v_add_f64_e32 v[84:85], v[84:85], v[193:194]
	v_mul_f64_e32 v[193:194], s[30:31], v[64:65]
	v_add_f64_e64 v[76:77], v[195:196], -v[76:77]
	v_add_f64_e64 v[72:73], v[197:198], -v[72:73]
	v_add_f64_e32 v[183:184], v[183:184], v[215:216]
	v_mul_f64_e32 v[215:216], s[22:23], v[103:104]
	v_add_f64_e64 v[181:182], v[213:214], -v[181:182]
	v_mul_f64_e32 v[213:214], s[14:15], v[103:104]
	v_mul_f64_e32 v[191:192], s[28:29], v[147:148]
	v_fma_f64 v[195:196], v[70:71], s[4:5], v[203:204]
	v_fma_f64 v[197:198], v[165:166], s[40:41], v[201:202]
	v_add_f64_e32 v[169:170], v[169:170], v[205:206]
	v_add_f64_e32 v[175:176], v[175:176], v[229:230]
	;; [unrolled: 1-line block ×3, first 2 shown]
	v_add_f64_e64 v[161:162], v[223:224], -v[161:162]
	v_mul_f64_e32 v[205:206], s[18:19], v[147:148]
	v_add_f64_e32 v[131:132], v[131:132], v[155:156]
	v_mul_f64_e32 v[223:224], s[36:37], v[97:98]
	v_mul_f64_e32 v[227:228], s[22:23], v[97:98]
	;; [unrolled: 1-line block ×3, first 2 shown]
	v_add_f64_e32 v[133:134], v[133:134], v[225:226]
	v_add_f64_e64 v[135:136], v[217:218], -v[135:136]
	v_add_f64_e32 v[50:51], v[50:51], v[58:59]
	v_add_f64_e32 v[48:49], v[48:49], v[56:57]
	v_mul_f64_e32 v[56:57], s[36:37], v[86:87]
	v_mul_f64_e32 v[58:59], s[40:41], v[89:90]
	v_fma_f64 v[231:232], v[68:69], s[44:45], v[52:53]
	v_fma_f64 v[233:234], v[66:67], s[28:29], v[54:55]
	;; [unrolled: 1-line block ×3, first 2 shown]
	v_fma_f64 v[54:55], v[66:67], s[28:29], -v[54:55]
	v_add_f64_e32 v[171:172], v[28:29], v[171:172]
	v_add_f64_e32 v[84:85], v[30:31], v[84:85]
	;; [unrolled: 1-line block ×3, first 2 shown]
	v_add_f64_e64 v[143:144], v[215:216], -v[143:144]
	v_add_f64_e64 v[113:114], v[213:214], -v[113:114]
	;; [unrolled: 1-line block ×3, first 2 shown]
	v_mul_f64_e32 v[213:214], s[14:15], v[163:164]
	v_add_f64_e64 v[149:150], v[205:206], -v[149:150]
	v_mul_f64_e32 v[205:206], s[18:19], v[163:164]
	v_add_f64_e64 v[127:128], v[223:224], -v[127:128]
	v_add_f64_e64 v[117:118], v[227:228], -v[117:118]
	;; [unrolled: 1-line block ×3, first 2 shown]
	v_add_f64_e32 v[50:51], v[50:51], v[62:63]
	v_add_f64_e32 v[48:49], v[48:49], v[60:61]
	v_mul_f64_e32 v[60:61], s[22:23], v[86:87]
	v_mul_f64_e32 v[62:63], s[16:17], v[89:90]
	;; [unrolled: 1-line block ×4, first 2 shown]
	v_fma_f64 v[235:236], v[68:69], s[38:39], v[56:57]
	v_fma_f64 v[237:238], v[66:67], s[36:37], v[58:59]
	;; [unrolled: 1-line block ×3, first 2 shown]
	v_fma_f64 v[58:59], v[66:67], s[36:37], -v[58:59]
	v_add_f64_e32 v[231:232], v[30:31], v[231:232]
	v_add_f64_e32 v[233:234], v[28:29], v[233:234]
	;; [unrolled: 1-line block ×7, first 2 shown]
	v_mul_f64_e32 v[171:172], s[16:17], v[151:152]
	v_mul_f64_e32 v[145:146], s[30:31], v[151:152]
	v_add_f64_e32 v[137:138], v[137:138], v[213:214]
	v_mul_f64_e32 v[143:144], s[22:23], v[167:168]
	v_add_f64_e32 v[119:120], v[119:120], v[205:206]
	;; [unrolled: 2-line block ×3, first 2 shown]
	v_add_f64_e32 v[44:45], v[48:49], v[44:45]
	v_mul_f64_e32 v[50:51], s[20:21], v[179:180]
	v_fma_f64 v[239:240], v[68:69], s[26:27], v[60:61]
	v_fma_f64 v[60:61], v[68:69], s[16:17], v[60:61]
	;; [unrolled: 1-line block ×3, first 2 shown]
	v_fma_f64 v[62:63], v[66:67], s[22:23], -v[62:63]
	v_mul_f64_e32 v[66:67], s[34:35], v[64:65]
	v_add_f64_e32 v[89:90], v[173:174], v[89:90]
	v_mul_f64_e32 v[64:65], s[38:39], v[64:65]
	v_add_f64_e32 v[74:75], v[74:75], v[86:87]
	v_mul_f64_e32 v[173:174], s[40:41], v[157:158]
	v_fma_f64 v[86:87], v[165:166], s[38:39], v[201:202]
	v_fma_f64 v[201:202], v[70:71], s[34:35], v[203:204]
	;; [unrolled: 1-line block ×3, first 2 shown]
	v_add_f64_e32 v[237:238], v[28:29], v[237:238]
	v_add_f64_e32 v[56:57], v[30:31], v[56:57]
	;; [unrolled: 1-line block ×4, first 2 shown]
	v_mul_f64_e32 v[179:180], s[18:19], v[179:180]
	v_mul_f64_e32 v[48:49], s[20:21], v[177:178]
	;; [unrolled: 1-line block ×3, first 2 shown]
	v_add_f64_e32 v[195:196], v[195:196], v[231:232]
	v_mul_f64_e32 v[231:232], s[28:29], v[93:94]
	v_add_f64_e32 v[42:43], v[46:47], v[42:43]
	v_add_f64_e32 v[40:41], v[44:45], v[40:41]
	v_fma_f64 v[44:45], v[70:71], s[10:11], v[211:212]
	v_fma_f64 v[46:47], v[165:166], s[6:7], v[209:210]
	;; [unrolled: 1-line block ×7, first 2 shown]
	v_mul_f64_e32 v[221:222], s[6:7], v[157:158]
	v_fma_f64 v[229:230], v[103:104], s[20:21], v[66:67]
	v_fma_f64 v[66:67], v[103:104], s[20:21], -v[66:67]
	v_add_f64_e32 v[68:69], v[28:29], v[68:69]
	v_add_f64_e32 v[60:61], v[30:31], v[60:61]
	;; [unrolled: 1-line block ×5, first 2 shown]
	v_fma_f64 v[72:73], v[103:104], s[18:19], v[193:194]
	v_fma_f64 v[193:194], v[103:104], s[18:19], -v[193:194]
	v_mul_f64_e32 v[157:158], s[34:35], v[157:158]
	v_add_f64_e32 v[239:240], v[30:31], v[239:240]
	v_add_f64_e32 v[30:31], v[30:31], v[74:75]
	v_mul_f64_e32 v[74:75], s[10:11], v[123:124]
	v_fma_f64 v[191:192], v[147:148], s[36:37], v[173:174]
	v_fma_f64 v[173:174], v[147:148], s[36:37], -v[173:174]
	v_add_f64_e32 v[52:53], v[201:202], v[52:53]
	v_add_f64_e32 v[153:154], v[153:154], v[179:180]
	;; [unrolled: 1-line block ×5, first 2 shown]
	v_mul_f64_e32 v[179:180], s[36:37], v[163:164]
	v_mul_f64_e32 v[201:202], s[20:21], v[93:94]
	v_add_f64_e64 v[95:96], v[231:232], -v[95:96]
	v_add_f64_e32 v[38:39], v[42:43], v[38:39]
	v_fma_f64 v[42:43], v[103:104], s[36:37], -v[64:65]
	v_fma_f64 v[64:65], v[103:104], s[36:37], v[64:65]
	v_add_f64_e32 v[36:37], v[40:41], v[36:37]
	v_add_f64_e32 v[56:57], v[209:210], v[56:57]
	;; [unrolled: 1-line block ×3, first 2 shown]
	v_mul_f64_e32 v[235:236], s[22:23], v[163:164]
	v_mul_f64_e32 v[103:104], s[14:15], v[91:92]
	;; [unrolled: 1-line block ×3, first 2 shown]
	v_fma_f64 v[40:41], v[147:148], s[14:15], v[221:222]
	v_fma_f64 v[221:222], v[147:148], s[14:15], -v[221:222]
	v_add_f64_e32 v[54:55], v[66:67], v[54:55]
	v_add_f64_e32 v[229:230], v[229:230], v[233:234]
	v_add_f64_e32 v[60:61], v[70:71], v[60:61]
	v_mul_f64_e32 v[163:164], s[28:29], v[163:164]
	v_add_f64_e32 v[89:90], v[169:170], v[89:90]
	v_add_f64_e32 v[28:29], v[113:114], v[28:29]
	;; [unrolled: 1-line block ×4, first 2 shown]
	v_mul_f64_e32 v[193:194], s[42:43], v[123:124]
	v_mul_f64_e32 v[123:124], s[44:45], v[123:124]
	v_fma_f64 v[215:216], v[147:148], s[20:21], v[157:158]
	v_fma_f64 v[147:148], v[147:148], s[20:21], -v[157:158]
	v_add_f64_e32 v[165:166], v[165:166], v[239:240]
	v_add_f64_e32 v[30:31], v[131:132], v[30:31]
	v_mul_f64_e32 v[237:238], s[16:17], v[139:140]
	v_mul_f64_e32 v[239:240], s[34:35], v[139:140]
	v_add_f64_e32 v[52:53], v[197:198], v[52:53]
	v_mul_f64_e32 v[139:140], s[44:45], v[139:140]
	v_fma_f64 v[113:114], v[80:81], s[44:45], v[207:208]
	v_fma_f64 v[131:132], v[80:81], s[30:31], v[219:220]
	;; [unrolled: 1-line block ×3, first 2 shown]
	v_fma_f64 v[74:75], v[97:98], s[18:19], -v[74:75]
	v_mul_f64_e32 v[157:158], s[36:37], v[91:92]
	v_mul_f64_e32 v[66:67], s[20:21], v[167:168]
	;; [unrolled: 1-line block ×5, first 2 shown]
	v_add_f64_e32 v[34:35], v[38:39], v[34:35]
	v_add_f64_e32 v[42:43], v[42:43], v[62:63]
	;; [unrolled: 1-line block ×4, first 2 shown]
	v_fma_f64 v[36:37], v[80:81], s[6:7], v[199:200]
	v_fma_f64 v[38:39], v[80:81], s[42:43], v[199:200]
	v_add_f64_e32 v[46:47], v[46:47], v[56:57]
	v_fma_f64 v[68:69], v[80:81], s[24:25], v[207:208]
	v_fma_f64 v[80:81], v[80:81], s[10:11], v[219:220]
	v_add_f64_e32 v[44:45], v[203:204], v[44:45]
	v_mul_f64_e32 v[62:63], s[36:37], v[167:168]
	v_add_f64_e32 v[54:55], v[173:174], v[54:55]
	v_add_f64_e64 v[103:104], v[103:104], -v[129:130]
	v_add_f64_e32 v[50:51], v[50:51], v[60:61]
	v_add_f64_e32 v[60:61], v[175:176], v[84:85]
	;; [unrolled: 1-line block ×6, first 2 shown]
	v_fma_f64 v[177:178], v[97:98], s[14:15], v[193:194]
	v_fma_f64 v[193:194], v[97:98], s[14:15], -v[193:194]
	v_fma_f64 v[199:200], v[97:98], s[28:29], v[123:124]
	v_add_f64_e32 v[76:77], v[181:182], v[161:162]
	v_fma_f64 v[97:98], v[97:98], s[28:29], -v[123:124]
	v_add_f64_e32 v[123:124], v[191:192], v[229:230]
	v_add_f64_e32 v[58:59], v[221:222], v[58:59]
	;; [unrolled: 1-line block ×4, first 2 shown]
	v_fma_f64 v[89:90], v[82:83], s[16:17], v[235:236]
	v_fma_f64 v[153:154], v[91:92], s[20:21], v[239:240]
	v_mul_f64_e32 v[167:168], s[14:15], v[167:168]
	v_fma_f64 v[149:150], v[82:83], s[4:5], v[209:210]
	v_fma_f64 v[159:160], v[82:83], s[34:35], v[209:210]
	v_fma_f64 v[161:162], v[91:92], s[20:21], -v[239:240]
	v_fma_f64 v[165:166], v[82:83], s[24:25], v[163:164]
	v_fma_f64 v[129:130], v[91:92], s[28:29], v[139:140]
	v_add_f64_e32 v[111:112], v[111:112], v[179:180]
	v_add_f64_e64 v[107:108], v[157:158], -v[107:108]
	v_add_f64_e32 v[26:27], v[34:35], v[26:27]
	v_add_f64_e32 v[42:43], v[147:148], v[42:43]
	;; [unrolled: 1-line block ×4, first 2 shown]
	v_fma_f64 v[32:33], v[82:83], s[26:27], v[235:236]
	v_fma_f64 v[147:148], v[91:92], s[22:23], -v[237:238]
	v_add_f64_e32 v[36:37], v[36:37], v[86:87]
	v_add_f64_e32 v[38:39], v[38:39], v[52:53]
	v_fma_f64 v[34:35], v[91:92], s[22:23], v[237:238]
	v_fma_f64 v[82:83], v[82:83], s[44:45], v[163:164]
	v_fma_f64 v[91:92], v[91:92], s[28:29], -v[139:140]
	v_add_f64_e32 v[46:47], v[113:114], v[46:47]
	v_add_f64_e32 v[44:45], v[68:69], v[44:45]
	;; [unrolled: 1-line block ×3, first 2 shown]
	v_fma_f64 v[80:81], v[93:94], s[22:23], v[171:172]
	v_add_f64_e32 v[48:49], v[48:49], v[56:57]
	v_add_f64_e32 v[66:67], v[105:106], v[66:67]
	v_add_f64_e64 v[101:102], v[201:202], -v[101:102]
	v_add_f64_e32 v[56:57], v[127:128], v[72:73]
	v_fma_f64 v[72:73], v[78:79], s[30:31], v[169:170]
	v_add_f64_e32 v[52:53], v[193:194], v[54:55]
	v_add_f64_e32 v[40:41], v[199:200], v[40:41]
	;; [unrolled: 1-line block ×9, first 2 shown]
	v_add_f64_e64 v[70:71], v[70:71], -v[109:110]
	v_fma_f64 v[76:77], v[78:79], s[26:27], v[143:144]
	v_fma_f64 v[84:85], v[78:79], s[16:17], v[143:144]
	v_fma_f64 v[97:98], v[93:94], s[22:23], -v[171:172]
	v_fma_f64 v[113:114], v[78:79], s[6:7], v[167:168]
	v_fma_f64 v[105:106], v[93:94], s[14:15], v[151:152]
	v_add_f64_e32 v[99:100], v[99:100], v[233:234]
	v_add_f64_e32 v[22:23], v[26:27], v[22:23]
	v_add_f64_e32 v[42:43], v[74:75], v[42:43]
	v_add_f64_e32 v[64:65], v[141:142], v[64:65]
	v_add_f64_e32 v[20:21], v[24:25], v[20:21]
	v_add_f64_e32 v[24:25], v[117:118], v[28:29]
	v_fma_f64 v[74:75], v[93:94], s[18:19], -v[145:146]
	v_add_f64_e32 v[32:33], v[32:33], v[36:37]
	v_add_f64_e32 v[36:37], v[89:90], v[38:39]
	v_fma_f64 v[26:27], v[78:79], s[10:11], v[169:170]
	v_fma_f64 v[28:29], v[93:94], s[18:19], v[145:146]
	;; [unrolled: 1-line block ×3, first 2 shown]
	v_fma_f64 v[93:94], v[93:94], s[14:15], -v[151:152]
	v_add_f64_e32 v[46:47], v[159:160], v[46:47]
	v_add_f64_e32 v[50:51], v[82:83], v[50:51]
	v_add_f64_e32 v[44:45], v[149:150], v[44:45]
	v_add_f64_e32 v[48:49], v[137:138], v[48:49]
	v_add_f64_e32 v[38:39], v[147:148], v[52:53]
	v_add_f64_e32 v[40:41], v[153:154], v[40:41]
	v_add_f64_e32 v[52:53], v[119:120], v[54:55]
	v_add_f64_e32 v[54:55], v[115:116], v[56:57]
	v_add_f64_e32 v[56:57], v[103:104], v[60:61]
	v_add_f64_e32 v[34:35], v[34:35], v[86:87]
	v_add_f64_e32 v[58:59], v[161:162], v[58:59]
	v_add_f64_e32 v[68:69], v[165:166], v[68:69]
	v_add_f64_e32 v[82:83], v[111:112], v[30:31]
	v_add_f64_e32 v[86:87], v[22:23], v[18:19]
	v_add_f64_e32 v[60:61], v[91:92], v[42:43]
	v_add_f64_e32 v[64:65], v[129:130], v[64:65]
	v_add_f64_e32 v[89:90], v[20:21], v[16:17]
	v_add_f64_e32 v[91:92], v[107:108], v[24:25]
	v_add_f64_e32 v[22:23], v[72:73], v[36:37]
	v_add_f64_e32 v[18:19], v[26:27], v[32:33]
	v_add_f64_e32 v[30:31], v[84:85], v[46:47]
	v_add_f64_e32 v[26:27], v[76:77], v[44:45]
	v_add_f64_e32 v[20:21], v[74:75], v[38:39]
	v_add_f64_e32 v[24:25], v[80:81], v[40:41]
	v_add_f64_e32 v[42:43], v[66:67], v[52:53]
	v_add_f64_e32 v[40:41], v[101:102], v[54:55]
	v_add_f64_e32 v[38:39], v[62:63], v[48:49]
	v_add_f64_e32 v[36:37], v[70:71], v[56:57]
	v_add_f64_e32 v[16:17], v[28:29], v[34:35]
	v_add_f64_e32 v[34:35], v[78:79], v[50:51]
	v_add_f64_e32 v[28:29], v[97:98], v[58:59]
	v_add_f64_e32 v[46:47], v[113:114], v[68:69]
	v_add_f64_e32 v[50:51], v[99:100], v[82:83]
	v_and_b32_e32 v52, 0xffff, v189
	s_delay_alu instid0(VALU_DEP_1)
	v_add_lshl_u32 v52, v190, v52, 4
	v_add_f64_e32 v[14:15], v[86:87], v[14:15]
	v_add_f64_e32 v[32:33], v[93:94], v[60:61]
	;; [unrolled: 1-line block ×5, first 2 shown]
	ds_store_b128 v52, v[8:11] offset:160
	ds_store_b128 v52, v[4:7] offset:176
	;; [unrolled: 1-line block ×10, first 2 shown]
	ds_store_b128 v52, v[12:15]
	ds_store_b128 v52, v[48:51] offset:16
	ds_store_b128 v52, v[0:3] offset:192
.LBB0_7:
	s_or_b32 exec_lo, exec_lo, s33
	v_mad_co_u64_u32 v[16:17], null, 0x90, v186, s[0:1]
	s_load_b128 s[0:3], s[2:3], 0x0
	global_wb scope:SCOPE_SE
	s_wait_dscnt 0x0
	s_wait_kmcnt 0x0
	s_barrier_signal -1
	s_barrier_wait -1
	global_inv scope:SCOPE_SE
	v_add_lshl_u32 v94, v190, v186, 4
	s_clause 0x8
	global_load_b128 v[32:35], v[16:17], off offset:32
	global_load_b128 v[40:43], v[16:17], off offset:64
	;; [unrolled: 1-line block ×4, first 2 shown]
	global_load_b128 v[12:15], v[16:17], off
	global_load_b128 v[28:31], v[16:17], off offset:16
	global_load_b128 v[24:27], v[16:17], off offset:48
	;; [unrolled: 1-line block ×4, first 2 shown]
	ds_load_b128 v[48:51], v94 offset:624
	ds_load_b128 v[52:55], v94 offset:1040
	;; [unrolled: 1-line block ×6, first 2 shown]
	s_mov_b32 s6, 0x134454ff
	s_mov_b32 s7, 0x3fee6f0e
	;; [unrolled: 1-line block ×3, first 2 shown]
	s_wait_alu 0xfffe
	s_mov_b32 s4, s6
	s_mov_b32 s14, 0x4755a5e
	;; [unrolled: 1-line block ×4, first 2 shown]
	s_wait_alu 0xfffe
	s_mov_b32 s10, s14
	s_mov_b32 s16, 0x372fe950
	;; [unrolled: 1-line block ×5, first 2 shown]
	v_lshl_add_u32 v93, v186, 4, v188
	s_wait_loadcnt_dscnt 0x805
	v_mul_f64_e32 v[72:73], v[50:51], v[34:35]
	v_mul_f64_e32 v[74:75], v[48:49], v[34:35]
	s_wait_loadcnt_dscnt 0x704
	v_mul_f64_e32 v[76:77], v[54:55], v[42:43]
	v_mul_f64_e32 v[78:79], v[52:53], v[42:43]
	s_wait_loadcnt_dscnt 0x603
	v_mul_f64_e32 v[80:81], v[56:57], v[38:39]
	s_wait_loadcnt_dscnt 0x502
	v_mul_f64_e32 v[82:83], v[60:61], v[46:47]
	v_mul_f64_e32 v[84:85], v[62:63], v[46:47]
	;; [unrolled: 1-line block ×3, first 2 shown]
	s_wait_loadcnt_dscnt 0x401
	v_mul_f64_e32 v[89:90], v[66:67], v[14:15]
	v_mul_f64_e32 v[91:92], v[64:65], v[14:15]
	v_fma_f64 v[72:73], v[48:49], v[32:33], -v[72:73]
	v_fma_f64 v[74:75], v[50:51], v[32:33], v[74:75]
	v_fma_f64 v[76:77], v[52:53], v[40:41], -v[76:77]
	v_fma_f64 v[78:79], v[54:55], v[40:41], v[78:79]
	v_fma_f64 v[80:81], v[58:59], v[36:37], v[80:81]
	;; [unrolled: 1-line block ×3, first 2 shown]
	v_fma_f64 v[60:61], v[60:61], v[44:45], -v[84:85]
	v_fma_f64 v[82:83], v[56:57], v[36:37], -v[86:87]
	ds_load_b128 v[48:51], v94 offset:832
	ds_load_b128 v[52:55], v94 offset:1248
	;; [unrolled: 1-line block ×3, first 2 shown]
	s_wait_loadcnt_dscnt 0x303
	v_mul_f64_e32 v[84:85], v[70:71], v[30:31]
	v_mul_f64_e32 v[86:87], v[68:69], v[30:31]
	v_fma_f64 v[64:65], v[64:65], v[12:13], -v[89:90]
	v_fma_f64 v[66:67], v[66:67], v[12:13], v[91:92]
	s_wait_loadcnt_dscnt 0x202
	v_mul_f64_e32 v[95:96], v[50:51], v[26:27]
	v_mul_f64_e32 v[97:98], v[48:49], v[26:27]
	s_wait_loadcnt_dscnt 0x101
	v_mul_f64_e32 v[99:100], v[54:55], v[22:23]
	s_wait_loadcnt_dscnt 0x0
	v_mul_f64_e32 v[101:102], v[58:59], v[18:19]
	v_mul_f64_e32 v[103:104], v[52:53], v[22:23]
	;; [unrolled: 1-line block ×3, first 2 shown]
	v_add_f64_e64 v[115:116], v[72:73], -v[76:77]
	v_add_f64_e64 v[119:120], v[76:77], -v[72:73]
	v_add_f64_e32 v[89:90], v[78:79], v[80:81]
	v_add_f64_e32 v[91:92], v[74:75], v[62:63]
	;; [unrolled: 1-line block ×4, first 2 shown]
	v_add_f64_e64 v[117:118], v[60:61], -v[82:83]
	v_fma_f64 v[68:69], v[68:69], v[28:29], -v[84:85]
	v_fma_f64 v[70:71], v[70:71], v[28:29], v[86:87]
	v_add_f64_e64 v[121:122], v[82:83], -v[60:61]
	v_add_f64_e64 v[123:124], v[74:75], -v[78:79]
	;; [unrolled: 1-line block ×5, first 2 shown]
	v_fma_f64 v[84:85], v[48:49], v[24:25], -v[95:96]
	v_fma_f64 v[86:87], v[50:51], v[24:25], v[97:98]
	v_fma_f64 v[52:53], v[52:53], v[20:21], -v[99:100]
	v_fma_f64 v[56:57], v[56:57], v[16:17], -v[101:102]
	v_fma_f64 v[54:55], v[54:55], v[20:21], v[103:104]
	v_fma_f64 v[58:59], v[58:59], v[16:17], v[105:106]
	v_add_f64_e64 v[95:96], v[74:75], -v[62:63]
	v_add_f64_e64 v[97:98], v[78:79], -v[80:81]
	;; [unrolled: 1-line block ×4, first 2 shown]
	ds_load_b128 v[48:51], v94
	v_fma_f64 v[89:90], v[89:90], -0.5, v[66:67]
	v_fma_f64 v[91:92], v[91:92], -0.5, v[66:67]
	;; [unrolled: 1-line block ×4, first 2 shown]
	v_add_f64_e32 v[64:65], v[64:65], v[72:73]
	v_add_f64_e32 v[66:67], v[66:67], v[74:75]
	s_wait_dscnt 0x0
	v_add_f64_e32 v[139:140], v[48:49], v[68:69]
	v_add_f64_e32 v[145:146], v[50:51], v[70:71]
	;; [unrolled: 1-line block ×6, first 2 shown]
	v_add_f64_e64 v[141:142], v[70:71], -v[58:59]
	v_add_f64_e64 v[143:144], v[86:87], -v[54:55]
	;; [unrolled: 1-line block ×4, first 2 shown]
	v_fma_f64 v[131:132], v[99:100], s[4:5], v[89:90]
	v_fma_f64 v[133:134], v[101:102], s[6:7], v[91:92]
	;; [unrolled: 1-line block ×8, first 2 shown]
	v_add_f64_e32 v[64:65], v[64:65], v[76:77]
	v_add_f64_e32 v[66:67], v[66:67], v[78:79]
	v_fma_f64 v[72:73], v[107:108], -0.5, v[48:49]
	v_fma_f64 v[48:49], v[109:110], -0.5, v[48:49]
	;; [unrolled: 1-line block ×4, first 2 shown]
	v_add_f64_e32 v[107:108], v[115:116], v[117:118]
	v_add_f64_e32 v[109:110], v[119:120], v[121:122]
	;; [unrolled: 1-line block ×4, first 2 shown]
	v_add_f64_e64 v[123:124], v[58:59], -v[54:55]
	v_add_f64_e64 v[125:126], v[54:55], -v[58:59]
	s_wait_alu 0xfffe
	v_fma_f64 v[115:116], v[101:102], s[10:11], v[131:132]
	v_fma_f64 v[117:118], v[99:100], s[10:11], v[133:134]
	;; [unrolled: 1-line block ×8, first 2 shown]
	v_add_f64_e64 v[99:100], v[68:69], -v[84:85]
	v_add_f64_e64 v[101:102], v[56:57], -v[52:53]
	;; [unrolled: 1-line block ×6, first 2 shown]
	v_add_f64_e32 v[84:85], v[139:140], v[84:85]
	v_add_f64_e32 v[86:87], v[145:146], v[86:87]
	;; [unrolled: 1-line block ×4, first 2 shown]
	v_fma_f64 v[76:77], v[141:142], s[6:7], v[72:73]
	v_fma_f64 v[72:73], v[141:142], s[4:5], v[72:73]
	;; [unrolled: 1-line block ×16, first 2 shown]
	v_add_f64_e32 v[99:100], v[99:100], v[101:102]
	v_add_f64_e32 v[68:69], v[68:69], v[103:104]
	;; [unrolled: 1-line block ×6, first 2 shown]
	v_fma_f64 v[76:77], v[143:144], s[14:15], v[76:77]
	v_fma_f64 v[72:73], v[143:144], s[10:11], v[72:73]
	;; [unrolled: 1-line block ×8, first 2 shown]
	v_mul_f64_e32 v[84:85], s[14:15], v[115:116]
	v_mul_f64_e32 v[86:87], s[6:7], v[117:118]
	v_mul_f64_e32 v[103:104], s[16:17], v[119:120]
	v_mul_f64_e32 v[105:106], s[18:19], v[121:122]
	v_mul_f64_e32 v[107:108], s[10:11], v[97:98]
	v_mul_f64_e32 v[109:110], s[4:5], v[95:96]
	v_mul_f64_e32 v[111:112], s[16:17], v[91:92]
	v_mul_f64_e32 v[113:114], s[18:19], v[89:90]
	v_add_f64_e32 v[52:53], v[52:53], v[56:57]
	v_add_f64_e32 v[54:55], v[54:55], v[58:59]
	;; [unrolled: 1-line block ×4, first 2 shown]
	v_fma_f64 v[76:77], v[99:100], s[16:17], v[76:77]
	v_fma_f64 v[99:100], v[99:100], s[16:17], v[72:73]
	v_fma_f64 v[78:79], v[68:69], s[16:17], v[78:79]
	v_fma_f64 v[68:69], v[68:69], s[16:17], v[48:49]
	v_fma_f64 v[123:124], v[101:102], s[16:17], v[80:81]
	v_fma_f64 v[101:102], v[101:102], s[16:17], v[74:75]
	v_fma_f64 v[82:83], v[70:71], s[16:17], v[82:83]
	v_fma_f64 v[70:71], v[70:71], s[16:17], v[50:51]
	v_fma_f64 v[80:81], v[97:98], s[18:19], v[84:85]
	v_fma_f64 v[86:87], v[95:96], s[16:17], v[86:87]
	v_fma_f64 v[91:92], v[91:92], s[6:7], -v[103:104]
	v_fma_f64 v[89:90], v[89:90], s[14:15], -v[105:106]
	v_fma_f64 v[95:96], v[115:116], s[18:19], v[107:108]
	v_fma_f64 v[97:98], v[117:118], s[16:17], v[109:110]
	v_fma_f64 v[103:104], v[119:120], s[4:5], -v[111:112]
	v_fma_f64 v[105:106], v[121:122], s[10:11], -v[113:114]
	v_add_f64_e32 v[48:49], v[52:53], v[56:57]
	v_add_f64_e32 v[50:51], v[54:55], v[58:59]
	v_add_f64_e64 v[72:73], v[52:53], -v[56:57]
	v_add_f64_e64 v[74:75], v[54:55], -v[58:59]
	v_add_f64_e32 v[52:53], v[76:77], v[80:81]
	v_add_f64_e32 v[56:57], v[78:79], v[86:87]
	;; [unrolled: 1-line block ×8, first 2 shown]
	v_add_f64_e64 v[84:85], v[76:77], -v[80:81]
	v_add_f64_e64 v[80:81], v[78:79], -v[86:87]
	;; [unrolled: 1-line block ×8, first 2 shown]
	ds_store_b128 v93, v[48:51]
	ds_store_b128 v93, v[52:55] offset:208
	ds_store_b128 v93, v[56:59] offset:416
	;; [unrolled: 1-line block ×9, first 2 shown]
	global_wb scope:SCOPE_SE
	s_wait_dscnt 0x0
	s_barrier_signal -1
	s_barrier_wait -1
	global_inv scope:SCOPE_SE
	s_and_saveexec_b32 s6, vcc_lo
	s_cbranch_execz .LBB0_9
; %bb.8:
	s_add_nc_u64 s[4:5], s[12:13], 0x820
	s_clause 0xc
	global_load_b128 v[89:92], v187, s[12:13] offset:2080
	global_load_b128 v[95:98], v187, s[4:5] offset:160
	;; [unrolled: 1-line block ×13, first 2 shown]
	ds_load_b128 v[143:146], v93
	ds_load_b128 v[147:150], v93 offset:160
	ds_load_b128 v[151:154], v93 offset:320
	;; [unrolled: 1-line block ×12, first 2 shown]
	s_wait_loadcnt_dscnt 0xc0c
	v_mul_f64_e32 v[183:184], v[145:146], v[91:92]
	v_mul_f64_e32 v[91:92], v[143:144], v[91:92]
	s_wait_loadcnt_dscnt 0xb0b
	v_mul_f64_e32 v[202:203], v[149:150], v[97:98]
	v_mul_f64_e32 v[97:98], v[147:148], v[97:98]
	;; [unrolled: 3-line block ×13, first 2 shown]
	v_fma_f64 v[141:142], v[143:144], v[89:90], -v[183:184]
	v_fma_f64 v[143:144], v[145:146], v[89:90], v[91:92]
	v_fma_f64 v[89:90], v[147:148], v[95:96], -v[202:203]
	v_fma_f64 v[91:92], v[149:150], v[95:96], v[97:98]
	;; [unrolled: 2-line block ×13, first 2 shown]
	ds_store_b128 v93, v[141:144]
	ds_store_b128 v93, v[89:92] offset:160
	ds_store_b128 v93, v[95:98] offset:320
	;; [unrolled: 1-line block ×12, first 2 shown]
.LBB0_9:
	s_wait_alu 0xfffe
	s_or_b32 exec_lo, exec_lo, s6
	global_wb scope:SCOPE_SE
	s_wait_dscnt 0x0
	s_barrier_signal -1
	s_barrier_wait -1
	global_inv scope:SCOPE_SE
	s_and_saveexec_b32 s4, vcc_lo
	s_cbranch_execz .LBB0_11
; %bb.10:
	ds_load_b128 v[48:51], v93
	ds_load_b128 v[52:55], v93 offset:160
	ds_load_b128 v[56:59], v93 offset:320
	;; [unrolled: 1-line block ×12, first 2 shown]
.LBB0_11:
	s_wait_alu 0xfffe
	s_or_b32 exec_lo, exec_lo, s4
	global_wb scope:SCOPE_SE
	s_wait_dscnt 0x0
	s_barrier_signal -1
	s_barrier_wait -1
	global_inv scope:SCOPE_SE
	s_and_saveexec_b32 s33, vcc_lo
	s_cbranch_execz .LBB0_13
; %bb.12:
	v_add_f64_e32 v[89:90], v[50:51], v[54:55]
	v_add_f64_e32 v[91:92], v[48:49], v[52:53]
	v_add_f64_e64 v[107:108], v[64:65], -v[68:69]
	v_add_f64_e64 v[109:110], v[66:67], -v[70:71]
	;; [unrolled: 1-line block ×3, first 2 shown]
	v_add_f64_e32 v[113:114], v[60:61], v[8:9]
	v_add_f64_e64 v[115:116], v[56:57], -v[4:5]
	v_add_f64_e64 v[117:118], v[58:59], -v[6:7]
	v_add_f64_e32 v[119:120], v[58:59], v[6:7]
	v_add_f64_e32 v[121:122], v[56:57], v[4:5]
	s_mov_b32 s37, 0x3fddbe06
	s_mov_b32 s36, 0x4267c47c
	;; [unrolled: 1-line block ×14, first 2 shown]
	s_wait_alu 0xfffe
	s_mov_b32 s26, s34
	s_mov_b32 s24, s30
	;; [unrolled: 1-line block ×14, first 2 shown]
	v_add_f64_e32 v[89:90], v[89:90], v[58:59]
	v_add_f64_e32 v[91:92], v[91:92], v[56:57]
	v_mul_f64_e32 v[99:100], s[36:37], v[107:108]
	v_mul_f64_e32 v[101:102], s[36:37], v[109:110]
	s_mov_b32 s39, 0x3fe5384d
	s_mov_b32 s38, s6
	v_mul_f64_e32 v[56:57], s[36:37], v[115:116]
	v_mul_f64_e32 v[58:59], s[36:37], v[117:118]
	v_add_f64_e32 v[89:90], v[89:90], v[62:63]
	v_add_f64_e32 v[91:92], v[91:92], v[60:61]
	s_delay_alu instid0(VALU_DEP_2) | instskip(NEXT) | instid1(VALU_DEP_2)
	v_add_f64_e32 v[89:90], v[89:90], v[66:67]
	v_add_f64_e32 v[91:92], v[91:92], v[64:65]
	;; [unrolled: 1-line block ×3, first 2 shown]
	s_delay_alu instid0(VALU_DEP_3) | instskip(NEXT) | instid1(VALU_DEP_3)
	v_add_f64_e32 v[89:90], v[89:90], v[74:75]
	v_add_f64_e32 v[91:92], v[91:92], v[72:73]
	s_delay_alu instid0(VALU_DEP_2) | instskip(NEXT) | instid1(VALU_DEP_2)
	v_add_f64_e32 v[95:96], v[89:90], v[86:87]
	v_add_f64_e32 v[97:98], v[91:92], v[84:85]
	v_add_f64_e64 v[91:92], v[84:85], -v[80:81]
	v_add_f64_e32 v[84:85], v[84:85], v[80:81]
	v_add_f64_e32 v[89:90], v[86:87], v[82:83]
	v_add_f64_e64 v[86:87], v[86:87], -v[82:83]
	v_add_f64_e32 v[95:96], v[95:96], v[82:83]
	v_add_f64_e32 v[97:98], v[97:98], v[80:81]
	;; [unrolled: 1-line block ×3, first 2 shown]
	v_add_f64_e64 v[74:75], v[74:75], -v[78:79]
	v_add_f64_e64 v[82:83], v[72:73], -v[76:77]
	v_add_f64_e32 v[72:73], v[72:73], v[76:77]
	v_mul_f64_e32 v[103:104], s[36:37], v[91:92]
	v_mul_f64_e32 v[105:106], s[36:37], v[86:87]
	;; [unrolled: 1-line block ×6, first 2 shown]
	v_add_f64_e32 v[78:79], v[95:96], v[78:79]
	v_add_f64_e32 v[95:96], v[97:98], v[76:77]
	;; [unrolled: 1-line block ×3, first 2 shown]
	v_mul_f64_e32 v[97:98], s[36:37], v[111:112]
	s_delay_alu instid0(VALU_DEP_4) | instskip(NEXT) | instid1(VALU_DEP_4)
	v_add_f64_e32 v[66:67], v[78:79], v[70:71]
	v_add_f64_e32 v[68:69], v[95:96], v[68:69]
	v_add_f64_e64 v[70:71], v[60:61], -v[8:9]
	v_add_f64_e32 v[78:79], v[62:63], v[10:11]
	v_mul_f64_e32 v[60:61], s[36:37], v[82:83]
	v_mul_f64_e32 v[62:63], s[36:37], v[74:75]
	v_add_f64_e32 v[10:11], v[66:67], v[10:11]
	v_add_f64_e32 v[8:9], v[68:69], v[8:9]
	v_mul_f64_e32 v[95:96], s[36:37], v[70:71]
	s_mov_b32 s37, 0xbfddbe06
	s_delay_alu instid0(VALU_DEP_3) | instskip(NEXT) | instid1(VALU_DEP_3)
	v_add_f64_e32 v[6:7], v[10:11], v[6:7]
	v_add_f64_e32 v[4:5], v[8:9], v[4:5]
	v_add_f64_e64 v[8:9], v[52:53], -v[0:1]
	v_add_f64_e64 v[10:11], v[54:55], -v[2:3]
	v_add_f64_e32 v[54:55], v[54:55], v[2:3]
	v_add_f64_e32 v[52:53], v[52:53], v[0:1]
	;; [unrolled: 1-line block ×4, first 2 shown]
	v_mul_f64_e32 v[4:5], s[4:5], v[8:9]
	v_mul_f64_e32 v[6:7], s[6:7], v[8:9]
	;; [unrolled: 1-line block ×3, first 2 shown]
	s_wait_alu 0xfffe
	v_mul_f64_e32 v[68:69], s[24:25], v[8:9]
	v_mul_f64_e32 v[123:124], s[26:27], v[8:9]
	;; [unrolled: 1-line block ×7, first 2 shown]
	v_fma_f64 v[125:126], v[54:55], s[14:15], v[4:5]
	v_fma_f64 v[4:5], v[54:55], s[14:15], -v[4:5]
	v_fma_f64 v[127:128], v[54:55], s[16:17], v[6:7]
	v_fma_f64 v[6:7], v[54:55], s[16:17], -v[6:7]
	;; [unrolled: 2-line block ×6, first 2 shown]
	v_mul_f64_e32 v[54:55], s[4:5], v[10:11]
	v_mul_f64_e32 v[10:11], s[36:37], v[10:11]
	v_fma_f64 v[151:152], v[52:53], s[20:21], -v[141:142]
	v_fma_f64 v[141:142], v[52:53], s[20:21], v[141:142]
	v_fma_f64 v[153:154], v[52:53], s[22:23], -v[143:144]
	v_fma_f64 v[147:148], v[52:53], s[16:17], -v[137:138]
	v_fma_f64 v[137:138], v[52:53], s[16:17], v[137:138]
	v_fma_f64 v[149:150], v[52:53], s[18:19], -v[139:140]
	v_fma_f64 v[139:140], v[52:53], s[18:19], v[139:140]
	v_fma_f64 v[143:144], v[52:53], s[22:23], v[143:144]
	s_mov_b32 s37, 0x3fcea1e5
	s_mov_b32 s36, s4
	v_add_f64_e32 v[127:128], v[50:51], v[127:128]
	v_add_f64_e32 v[157:158], v[50:51], v[6:7]
	v_fma_f64 v[6:7], v[121:122], s[28:29], -v[58:59]
	v_add_f64_e32 v[159:160], v[50:51], v[66:67]
	v_add_f64_e32 v[129:130], v[50:51], v[129:130]
	;; [unrolled: 1-line block ×7, first 2 shown]
	v_fma_f64 v[145:146], v[52:53], s[14:15], -v[54:55]
	v_fma_f64 v[155:156], v[52:53], s[28:29], -v[10:11]
	v_fma_f64 v[54:55], v[52:53], s[14:15], v[54:55]
	v_fma_f64 v[10:11], v[52:53], s[28:29], v[10:11]
	v_add_f64_e32 v[52:53], v[50:51], v[125:126]
	v_add_f64_e32 v[68:69], v[48:49], v[141:142]
	;; [unrolled: 1-line block ×9, first 2 shown]
	v_fma_f64 v[58:59], v[121:122], s[28:29], v[58:59]
	v_add_f64_e32 v[125:126], v[48:49], v[145:146]
	v_add_f64_e32 v[145:146], v[50:51], v[4:5]
	;; [unrolled: 1-line block ×4, first 2 shown]
	v_fma_f64 v[4:5], v[119:120], s[28:29], v[56:57]
	v_mul_f64_e32 v[8:9], s[6:7], v[70:71]
	v_add_f64_e32 v[161:162], v[48:49], v[10:11]
	v_add_f64_e32 v[54:55], v[48:49], v[54:55]
	v_fma_f64 v[56:57], v[119:120], s[28:29], -v[56:57]
	v_add_f64_e32 v[6:7], v[6:7], v[125:126]
	v_add_f64_e32 v[4:5], v[4:5], v[52:53]
	v_fma_f64 v[10:11], v[78:79], s[16:17], v[8:9]
	v_fma_f64 v[8:9], v[78:79], s[16:17], -v[8:9]
	v_add_f64_e32 v[54:55], v[58:59], v[54:55]
	v_add_f64_e32 v[56:57], v[56:57], v[145:146]
	s_delay_alu instid0(VALU_DEP_4) | instskip(SKIP_1) | instid1(VALU_DEP_3)
	v_add_f64_e32 v[4:5], v[10:11], v[4:5]
	v_mul_f64_e32 v[10:11], s[6:7], v[111:112]
	v_add_f64_e32 v[8:9], v[8:9], v[56:57]
	v_mul_f64_e32 v[56:57], s[26:27], v[70:71]
	s_delay_alu instid0(VALU_DEP_3) | instskip(SKIP_1) | instid1(VALU_DEP_3)
	v_fma_f64 v[48:49], v[113:114], s[16:17], -v[10:11]
	v_fma_f64 v[10:11], v[113:114], s[16:17], v[10:11]
	v_fma_f64 v[58:59], v[78:79], s[22:23], v[56:57]
	v_fma_f64 v[56:57], v[78:79], s[22:23], -v[56:57]
	s_delay_alu instid0(VALU_DEP_4) | instskip(SKIP_3) | instid1(VALU_DEP_3)
	v_add_f64_e32 v[6:7], v[48:49], v[6:7]
	v_mul_f64_e32 v[48:49], s[34:35], v[107:108]
	v_add_f64_e32 v[10:11], v[10:11], v[54:55]
	v_mul_f64_e32 v[54:55], s[30:31], v[117:118]
	v_fma_f64 v[50:51], v[76:77], s[22:23], v[48:49]
	v_fma_f64 v[48:49], v[76:77], s[22:23], -v[48:49]
	s_delay_alu instid0(VALU_DEP_2) | instskip(SKIP_1) | instid1(VALU_DEP_3)
	v_add_f64_e32 v[4:5], v[50:51], v[4:5]
	v_mul_f64_e32 v[50:51], s[34:35], v[109:110]
	v_add_f64_e32 v[8:9], v[48:49], v[8:9]
	s_delay_alu instid0(VALU_DEP_2) | instskip(SKIP_2) | instid1(VALU_DEP_3)
	v_fma_f64 v[52:53], v[64:65], s[22:23], -v[50:51]
	v_fma_f64 v[48:49], v[64:65], s[22:23], v[50:51]
	v_fma_f64 v[50:51], v[84:85], s[20:21], v[167:168]
	v_add_f64_e32 v[6:7], v[52:53], v[6:7]
	v_mul_f64_e32 v[52:53], s[10:11], v[82:83]
	s_delay_alu instid0(VALU_DEP_4) | instskip(NEXT) | instid1(VALU_DEP_2)
	v_add_f64_e32 v[10:11], v[48:49], v[10:11]
	v_fma_f64 v[125:126], v[80:81], s[18:19], v[52:53]
	v_fma_f64 v[48:49], v[80:81], s[18:19], -v[52:53]
	v_mul_f64_e32 v[52:53], s[30:31], v[115:116]
	s_delay_alu instid0(VALU_DEP_3) | instskip(SKIP_1) | instid1(VALU_DEP_4)
	v_add_f64_e32 v[4:5], v[125:126], v[4:5]
	v_mul_f64_e32 v[125:126], s[10:11], v[74:75]
	v_add_f64_e32 v[8:9], v[48:49], v[8:9]
	s_delay_alu instid0(VALU_DEP_2) | instskip(SKIP_1) | instid1(VALU_DEP_2)
	v_fma_f64 v[48:49], v[72:73], s[18:19], v[125:126]
	v_fma_f64 v[163:164], v[72:73], s[18:19], -v[125:126]
	v_add_f64_e32 v[48:49], v[48:49], v[10:11]
	v_fma_f64 v[10:11], v[89:90], s[20:21], -v[165:166]
	s_delay_alu instid0(VALU_DEP_3) | instskip(SKIP_1) | instid1(VALU_DEP_3)
	v_add_f64_e32 v[163:164], v[163:164], v[6:7]
	v_fma_f64 v[6:7], v[89:90], s[20:21], v[165:166]
	v_add_f64_e32 v[10:11], v[10:11], v[8:9]
	v_add_f64_e32 v[8:9], v[50:51], v[48:49]
	v_fma_f64 v[48:49], v[119:120], s[20:21], v[52:53]
	v_fma_f64 v[50:51], v[121:122], s[20:21], -v[54:55]
	v_fma_f64 v[52:53], v[119:120], s[20:21], -v[52:53]
	v_fma_f64 v[54:55], v[121:122], s[20:21], v[54:55]
	v_add_f64_e32 v[6:7], v[6:7], v[4:5]
	v_fma_f64 v[4:5], v[84:85], s[20:21], -v[167:168]
	v_add_f64_e32 v[48:49], v[48:49], v[127:128]
	v_add_f64_e32 v[50:51], v[50:51], v[147:148]
	;; [unrolled: 1-line block ×4, first 2 shown]
	v_mul_f64_e32 v[147:148], s[10:11], v[91:92]
	v_add_f64_e32 v[4:5], v[4:5], v[163:164]
	v_mul_f64_e32 v[163:164], s[10:11], v[86:87]
	v_mul_f64_e32 v[137:138], s[24:25], v[109:110]
	;; [unrolled: 1-line block ×4, first 2 shown]
	v_add_f64_e32 v[48:49], v[58:59], v[48:49]
	v_mul_f64_e32 v[58:59], s[26:27], v[111:112]
	v_add_f64_e32 v[52:53], v[56:57], v[52:53]
	s_delay_alu instid0(VALU_DEP_2) | instskip(SKIP_2) | instid1(VALU_DEP_3)
	v_fma_f64 v[125:126], v[113:114], s[22:23], -v[58:59]
	v_fma_f64 v[56:57], v[113:114], s[22:23], v[58:59]
	v_fma_f64 v[58:59], v[84:85], s[18:19], v[163:164]
	v_add_f64_e32 v[50:51], v[125:126], v[50:51]
	s_wait_alu 0xfffe
	v_mul_f64_e32 v[125:126], s[36:37], v[107:108]
	s_delay_alu instid0(VALU_DEP_4) | instskip(NEXT) | instid1(VALU_DEP_2)
	v_add_f64_e32 v[54:55], v[56:57], v[54:55]
	v_fma_f64 v[127:128], v[76:77], s[14:15], v[125:126]
	v_fma_f64 v[56:57], v[76:77], s[14:15], -v[125:126]
	v_mul_f64_e32 v[125:126], s[38:39], v[115:116]
	s_delay_alu instid0(VALU_DEP_3) | instskip(SKIP_1) | instid1(VALU_DEP_4)
	v_add_f64_e32 v[48:49], v[127:128], v[48:49]
	v_mul_f64_e32 v[127:128], s[36:37], v[109:110]
	v_add_f64_e32 v[52:53], v[56:57], v[52:53]
	s_delay_alu instid0(VALU_DEP_2) | instskip(SKIP_2) | instid1(VALU_DEP_3)
	v_fma_f64 v[56:57], v[64:65], s[14:15], v[127:128]
	v_fma_f64 v[145:146], v[64:65], s[14:15], -v[127:128]
	v_mul_f64_e32 v[127:128], s[38:39], v[117:118]
	v_add_f64_e32 v[54:55], v[56:57], v[54:55]
	v_fma_f64 v[56:57], v[80:81], s[28:29], -v[60:61]
	s_delay_alu instid0(VALU_DEP_4)
	v_add_f64_e32 v[50:51], v[145:146], v[50:51]
	v_fma_f64 v[145:146], v[80:81], s[28:29], v[60:61]
	v_fma_f64 v[60:61], v[78:79], s[28:29], v[95:96]
	v_fma_f64 v[95:96], v[78:79], s[28:29], -v[95:96]
	v_add_f64_e32 v[52:53], v[56:57], v[52:53]
	v_fma_f64 v[56:57], v[72:73], s[28:29], v[62:63]
	v_add_f64_e32 v[48:49], v[145:146], v[48:49]
	v_fma_f64 v[145:146], v[72:73], s[28:29], -v[62:63]
	s_delay_alu instid0(VALU_DEP_3) | instskip(SKIP_1) | instid1(VALU_DEP_3)
	v_add_f64_e32 v[56:57], v[56:57], v[54:55]
	v_fma_f64 v[54:55], v[89:90], s[18:19], -v[147:148]
	v_add_f64_e32 v[145:146], v[145:146], v[50:51]
	v_fma_f64 v[50:51], v[89:90], s[18:19], v[147:148]
	v_mul_f64_e32 v[147:148], s[36:37], v[74:75]
	s_delay_alu instid0(VALU_DEP_4)
	v_add_f64_e32 v[54:55], v[54:55], v[52:53]
	v_add_f64_e32 v[52:53], v[58:59], v[56:57]
	v_fma_f64 v[56:57], v[119:120], s[16:17], v[125:126]
	v_fma_f64 v[58:59], v[121:122], s[16:17], -v[127:128]
	v_add_f64_e32 v[50:51], v[50:51], v[48:49]
	v_fma_f64 v[48:49], v[84:85], s[18:19], -v[163:164]
	v_mul_f64_e32 v[163:164], s[10:11], v[115:116]
	v_fma_f64 v[125:126], v[119:120], s[16:17], -v[125:126]
	v_fma_f64 v[127:128], v[121:122], s[16:17], v[127:128]
	v_add_f64_e32 v[56:57], v[56:57], v[129:130]
	v_add_f64_e32 v[58:59], v[58:59], v[149:150]
	v_mul_f64_e32 v[129:130], s[24:25], v[107:108]
	v_add_f64_e32 v[48:49], v[48:49], v[145:146]
	v_mul_f64_e32 v[145:146], s[36:37], v[82:83]
	v_mul_f64_e32 v[149:150], s[34:35], v[91:92]
	v_add_f64_e32 v[125:126], v[125:126], v[159:160]
	v_add_f64_e32 v[127:128], v[127:128], v[139:140]
	v_mul_f64_e32 v[91:92], s[4:5], v[91:92]
	v_add_f64_e32 v[56:57], v[60:61], v[56:57]
	v_fma_f64 v[60:61], v[113:114], s[28:29], -v[97:98]
	v_fma_f64 v[97:98], v[113:114], s[28:29], v[97:98]
	v_add_f64_e32 v[95:96], v[95:96], v[125:126]
	v_fma_f64 v[125:126], v[76:77], s[20:21], -v[129:130]
	s_delay_alu instid0(VALU_DEP_4)
	v_add_f64_e32 v[58:59], v[60:61], v[58:59]
	v_fma_f64 v[60:61], v[76:77], s[20:21], v[129:130]
	v_add_f64_e32 v[97:98], v[97:98], v[127:128]
	v_fma_f64 v[127:128], v[84:85], s[22:23], v[157:158]
	v_add_f64_e32 v[95:96], v[125:126], v[95:96]
	v_fma_f64 v[125:126], v[64:65], s[20:21], v[137:138]
	v_add_f64_e32 v[56:57], v[60:61], v[56:57]
	v_fma_f64 v[60:61], v[64:65], s[20:21], -v[137:138]
	s_delay_alu instid0(VALU_DEP_3) | instskip(SKIP_1) | instid1(VALU_DEP_3)
	v_add_f64_e32 v[97:98], v[125:126], v[97:98]
	v_fma_f64 v[125:126], v[80:81], s[14:15], -v[145:146]
	v_add_f64_e32 v[58:59], v[60:61], v[58:59]
	v_fma_f64 v[60:61], v[80:81], s[14:15], v[145:146]
	s_delay_alu instid0(VALU_DEP_3) | instskip(SKIP_1) | instid1(VALU_DEP_3)
	v_add_f64_e32 v[95:96], v[125:126], v[95:96]
	v_fma_f64 v[125:126], v[72:73], s[14:15], v[147:148]
	v_add_f64_e32 v[56:57], v[60:61], v[56:57]
	v_fma_f64 v[60:61], v[72:73], s[14:15], -v[147:148]
	s_delay_alu instid0(VALU_DEP_3) | instskip(SKIP_1) | instid1(VALU_DEP_3)
	v_add_f64_e32 v[125:126], v[125:126], v[97:98]
	v_fma_f64 v[97:98], v[89:90], s[22:23], -v[149:150]
	v_add_f64_e32 v[60:61], v[60:61], v[58:59]
	v_fma_f64 v[58:59], v[89:90], s[22:23], v[149:150]
	s_delay_alu instid0(VALU_DEP_3) | instskip(SKIP_1) | instid1(VALU_DEP_3)
	v_add_f64_e32 v[97:98], v[97:98], v[95:96]
	v_add_f64_e32 v[95:96], v[127:128], v[125:126]
	;; [unrolled: 1-line block ×3, first 2 shown]
	v_fma_f64 v[56:57], v[84:85], s[22:23], -v[157:158]
	s_delay_alu instid0(VALU_DEP_1) | instskip(SKIP_1) | instid1(VALU_DEP_1)
	v_add_f64_e32 v[56:57], v[56:57], v[60:61]
	v_fma_f64 v[60:61], v[119:120], s[18:19], -v[163:164]
	v_add_f64_e32 v[60:61], v[60:61], v[123:124]
	v_mul_f64_e32 v[123:124], s[10:11], v[117:118]
	s_delay_alu instid0(VALU_DEP_1) | instskip(SKIP_1) | instid1(VALU_DEP_2)
	v_fma_f64 v[62:63], v[121:122], s[18:19], v[123:124]
	v_fma_f64 v[123:124], v[121:122], s[18:19], -v[123:124]
	v_add_f64_e32 v[62:63], v[62:63], v[143:144]
	v_mul_f64_e32 v[143:144], s[4:5], v[70:71]
	s_delay_alu instid0(VALU_DEP_3) | instskip(NEXT) | instid1(VALU_DEP_2)
	v_add_f64_e32 v[123:124], v[123:124], v[141:142]
	v_fma_f64 v[165:166], v[78:79], s[14:15], -v[143:144]
	s_delay_alu instid0(VALU_DEP_1) | instskip(SKIP_1) | instid1(VALU_DEP_1)
	v_add_f64_e32 v[60:61], v[165:166], v[60:61]
	v_mul_f64_e32 v[165:166], s[4:5], v[111:112]
	v_fma_f64 v[167:168], v[113:114], s[14:15], v[165:166]
	s_delay_alu instid0(VALU_DEP_1) | instskip(SKIP_1) | instid1(VALU_DEP_1)
	v_add_f64_e32 v[62:63], v[167:168], v[62:63]
	v_mul_f64_e32 v[167:168], s[38:39], v[107:108]
	v_fma_f64 v[169:170], v[76:77], s[16:17], -v[167:168]
	s_delay_alu instid0(VALU_DEP_1) | instskip(SKIP_1) | instid1(VALU_DEP_1)
	v_add_f64_e32 v[60:61], v[169:170], v[60:61]
	v_mul_f64_e32 v[169:170], s[38:39], v[109:110]
	v_fma_f64 v[171:172], v[64:65], s[16:17], v[169:170]
	s_delay_alu instid0(VALU_DEP_1) | instskip(SKIP_1) | instid1(VALU_DEP_1)
	v_add_f64_e32 v[62:63], v[171:172], v[62:63]
	v_mul_f64_e32 v[171:172], s[30:31], v[82:83]
	v_fma_f64 v[173:174], v[80:81], s[20:21], -v[171:172]
	s_delay_alu instid0(VALU_DEP_1) | instskip(SKIP_3) | instid1(VALU_DEP_1)
	v_add_f64_e32 v[60:61], v[173:174], v[60:61]
	v_mul_f64_e32 v[173:174], s[30:31], v[74:75]
	s_mov_b32 s31, 0x3fedeba7
	s_mov_b32 s30, s10
	v_fma_f64 v[175:176], v[72:73], s[20:21], v[173:174]
	s_delay_alu instid0(VALU_DEP_1) | instskip(SKIP_2) | instid1(VALU_DEP_2)
	v_add_f64_e32 v[175:176], v[175:176], v[62:63]
	v_fma_f64 v[62:63], v[89:90], s[28:29], -v[103:104]
	v_fma_f64 v[103:104], v[89:90], s[28:29], v[103:104]
	v_add_f64_e32 v[62:63], v[62:63], v[60:61]
	v_fma_f64 v[60:61], v[84:85], s[28:29], v[105:106]
	s_delay_alu instid0(VALU_DEP_1) | instskip(SKIP_2) | instid1(VALU_DEP_2)
	v_add_f64_e32 v[60:61], v[60:61], v[175:176]
	v_mul_f64_e32 v[175:176], s[4:5], v[115:116]
	v_mul_f64_e32 v[115:116], s[26:27], v[115:116]
	v_fma_f64 v[177:178], v[119:120], s[14:15], -v[175:176]
	v_fma_f64 v[125:126], v[119:120], s[14:15], v[175:176]
	s_delay_alu instid0(VALU_DEP_2) | instskip(SKIP_1) | instid1(VALU_DEP_3)
	v_add_f64_e32 v[66:67], v[177:178], v[66:67]
	v_mul_f64_e32 v[177:178], s[4:5], v[117:118]
	v_add_f64_e32 v[125:126], v[125:126], v[131:132]
	v_mul_f64_e32 v[117:118], s[26:27], v[117:118]
	s_delay_alu instid0(VALU_DEP_3) | instskip(SKIP_1) | instid1(VALU_DEP_2)
	v_fma_f64 v[179:180], v[121:122], s[14:15], v[177:178]
	v_fma_f64 v[127:128], v[121:122], s[14:15], -v[177:178]
	v_add_f64_e32 v[68:69], v[179:180], v[68:69]
	s_wait_alu 0xfffe
	v_mul_f64_e32 v[179:180], s[30:31], v[70:71]
	s_delay_alu instid0(VALU_DEP_3) | instskip(SKIP_1) | instid1(VALU_DEP_3)
	v_add_f64_e32 v[127:128], v[127:128], v[151:152]
	v_mul_f64_e32 v[70:71], s[24:25], v[70:71]
	v_fma_f64 v[181:182], v[78:79], s[18:19], -v[179:180]
	v_fma_f64 v[129:130], v[78:79], s[18:19], v[179:180]
	s_delay_alu instid0(VALU_DEP_2) | instskip(SKIP_1) | instid1(VALU_DEP_3)
	v_add_f64_e32 v[66:67], v[181:182], v[66:67]
	v_mul_f64_e32 v[181:182], s[30:31], v[111:112]
	v_add_f64_e32 v[125:126], v[129:130], v[125:126]
	v_mul_f64_e32 v[111:112], s[24:25], v[111:112]
	s_delay_alu instid0(VALU_DEP_3) | instskip(SKIP_1) | instid1(VALU_DEP_2)
	v_fma_f64 v[183:184], v[113:114], s[18:19], v[181:182]
	v_fma_f64 v[129:130], v[113:114], s[18:19], -v[181:182]
	v_add_f64_e32 v[68:69], v[183:184], v[68:69]
	v_fma_f64 v[183:184], v[76:77], s[28:29], -v[99:100]
	v_fma_f64 v[99:100], v[76:77], s[28:29], v[99:100]
	s_delay_alu instid0(VALU_DEP_4) | instskip(NEXT) | instid1(VALU_DEP_3)
	v_add_f64_e32 v[127:128], v[129:130], v[127:128]
	v_add_f64_e32 v[66:67], v[183:184], v[66:67]
	v_fma_f64 v[183:184], v[64:65], s[28:29], v[101:102]
	s_delay_alu instid0(VALU_DEP_4) | instskip(SKIP_1) | instid1(VALU_DEP_3)
	v_add_f64_e32 v[99:100], v[99:100], v[125:126]
	v_fma_f64 v[101:102], v[64:65], s[28:29], -v[101:102]
	v_add_f64_e32 v[68:69], v[183:184], v[68:69]
	v_mul_f64_e32 v[183:184], s[26:27], v[82:83]
	s_delay_alu instid0(VALU_DEP_3) | instskip(SKIP_2) | instid1(VALU_DEP_4)
	v_add_f64_e32 v[101:102], v[101:102], v[127:128]
	v_fma_f64 v[127:128], v[84:85], s[16:17], -v[196:197]
	v_mul_f64_e32 v[82:83], s[6:7], v[82:83]
	v_fma_f64 v[190:191], v[80:81], s[22:23], -v[183:184]
	v_fma_f64 v[125:126], v[80:81], s[22:23], v[183:184]
	s_delay_alu instid0(VALU_DEP_2) | instskip(SKIP_1) | instid1(VALU_DEP_3)
	v_add_f64_e32 v[66:67], v[190:191], v[66:67]
	v_mul_f64_e32 v[190:191], s[26:27], v[74:75]
	v_add_f64_e32 v[99:100], v[125:126], v[99:100]
	v_mul_f64_e32 v[74:75], s[6:7], v[74:75]
	s_delay_alu instid0(VALU_DEP_3) | instskip(SKIP_1) | instid1(VALU_DEP_2)
	v_fma_f64 v[125:126], v[72:73], s[22:23], -v[190:191]
	v_fma_f64 v[192:193], v[72:73], s[22:23], v[190:191]
	v_add_f64_e32 v[125:126], v[125:126], v[101:102]
	v_fma_f64 v[101:102], v[89:90], s[16:17], v[194:195]
	s_delay_alu instid0(VALU_DEP_3) | instskip(SKIP_1) | instid1(VALU_DEP_3)
	v_add_f64_e32 v[192:193], v[192:193], v[68:69]
	v_fma_f64 v[68:69], v[89:90], s[16:17], -v[194:195]
	v_add_f64_e32 v[101:102], v[101:102], v[99:100]
	v_add_f64_e32 v[99:100], v[127:128], v[125:126]
	v_fma_f64 v[125:126], v[119:120], s[18:19], v[163:164]
	v_fma_f64 v[127:128], v[78:79], s[14:15], v[143:144]
	v_add_f64_e32 v[68:69], v[68:69], v[66:67]
	v_fma_f64 v[66:67], v[84:85], s[16:17], v[196:197]
	s_delay_alu instid0(VALU_DEP_4) | instskip(NEXT) | instid1(VALU_DEP_2)
	v_add_f64_e32 v[125:126], v[125:126], v[133:134]
	v_add_f64_e32 v[66:67], v[66:67], v[192:193]
	s_delay_alu instid0(VALU_DEP_2) | instskip(SKIP_1) | instid1(VALU_DEP_1)
	v_add_f64_e32 v[125:126], v[127:128], v[125:126]
	v_fma_f64 v[127:128], v[113:114], s[14:15], -v[165:166]
	v_add_f64_e32 v[123:124], v[127:128], v[123:124]
	v_fma_f64 v[127:128], v[76:77], s[16:17], v[167:168]
	s_delay_alu instid0(VALU_DEP_1) | instskip(SKIP_1) | instid1(VALU_DEP_1)
	v_add_f64_e32 v[125:126], v[127:128], v[125:126]
	v_fma_f64 v[127:128], v[64:65], s[16:17], -v[169:170]
	v_add_f64_e32 v[123:124], v[127:128], v[123:124]
	v_fma_f64 v[127:128], v[80:81], s[20:21], v[171:172]
	s_delay_alu instid0(VALU_DEP_1) | instskip(SKIP_1) | instid1(VALU_DEP_1)
	v_add_f64_e32 v[125:126], v[127:128], v[125:126]
	v_fma_f64 v[127:128], v[72:73], s[20:21], -v[173:174]
	v_add_f64_e32 v[123:124], v[127:128], v[123:124]
	v_fma_f64 v[127:128], v[84:85], s[28:29], -v[105:106]
	s_delay_alu instid0(VALU_DEP_4) | instskip(SKIP_2) | instid1(VALU_DEP_4)
	v_add_f64_e32 v[105:106], v[103:104], v[125:126]
	v_fma_f64 v[125:126], v[121:122], s[22:23], v[117:118]
	v_fma_f64 v[117:118], v[121:122], s[22:23], -v[117:118]
	v_add_f64_e32 v[103:104], v[127:128], v[123:124]
	v_fma_f64 v[123:124], v[119:120], s[22:23], -v[115:116]
	v_fma_f64 v[127:128], v[78:79], s[20:21], -v[70:71]
	v_add_f64_e32 v[125:126], v[125:126], v[161:162]
	v_fma_f64 v[115:116], v[119:120], s[22:23], v[115:116]
	v_fma_f64 v[70:71], v[78:79], s[20:21], v[70:71]
	v_add_f64_e32 v[123:124], v[123:124], v[155:156]
	s_delay_alu instid0(VALU_DEP_3) | instskip(NEXT) | instid1(VALU_DEP_2)
	v_add_f64_e32 v[78:79], v[115:116], v[135:136]
	v_add_f64_e32 v[123:124], v[127:128], v[123:124]
	v_fma_f64 v[127:128], v[113:114], s[20:21], v[111:112]
	v_fma_f64 v[111:112], v[113:114], s[20:21], -v[111:112]
	v_add_f64_e32 v[113:114], v[117:118], v[153:154]
	v_add_f64_e32 v[70:71], v[70:71], v[78:79]
	s_delay_alu instid0(VALU_DEP_4) | instskip(SKIP_1) | instid1(VALU_DEP_4)
	v_add_f64_e32 v[125:126], v[127:128], v[125:126]
	v_mul_f64_e32 v[127:128], s[10:11], v[107:108]
	v_add_f64_e32 v[78:79], v[111:112], v[113:114]
	s_delay_alu instid0(VALU_DEP_2) | instskip(SKIP_1) | instid1(VALU_DEP_2)
	v_fma_f64 v[107:108], v[76:77], s[18:19], -v[127:128]
	v_fma_f64 v[76:77], v[76:77], s[18:19], v[127:128]
	v_add_f64_e32 v[107:108], v[107:108], v[123:124]
	v_mul_f64_e32 v[123:124], s[10:11], v[109:110]
	s_delay_alu instid0(VALU_DEP_3) | instskip(SKIP_1) | instid1(VALU_DEP_3)
	v_add_f64_e32 v[70:71], v[76:77], v[70:71]
	v_fma_f64 v[76:77], v[84:85], s[14:15], -v[86:87]
	v_fma_f64 v[109:110], v[64:65], s[18:19], v[123:124]
	v_fma_f64 v[64:65], v[64:65], s[18:19], -v[123:124]
	s_delay_alu instid0(VALU_DEP_2) | instskip(SKIP_2) | instid1(VALU_DEP_4)
	v_add_f64_e32 v[109:110], v[109:110], v[125:126]
	v_fma_f64 v[125:126], v[80:81], s[16:17], -v[82:83]
	v_fma_f64 v[80:81], v[80:81], s[16:17], v[82:83]
	v_add_f64_e32 v[64:65], v[64:65], v[78:79]
	s_delay_alu instid0(VALU_DEP_3) | instskip(SKIP_4) | instid1(VALU_DEP_4)
	v_add_f64_e32 v[107:108], v[125:126], v[107:108]
	v_fma_f64 v[125:126], v[72:73], s[16:17], v[74:75]
	v_fma_f64 v[72:73], v[72:73], s[16:17], -v[74:75]
	v_fma_f64 v[74:75], v[89:90], s[14:15], v[91:92]
	v_add_f64_e32 v[70:71], v[80:81], v[70:71]
	v_add_f64_e32 v[125:126], v[125:126], v[109:110]
	v_fma_f64 v[109:110], v[89:90], s[14:15], -v[91:92]
	v_add_f64_e32 v[64:65], v[72:73], v[64:65]
	s_delay_alu instid0(VALU_DEP_4) | instskip(NEXT) | instid1(VALU_DEP_3)
	v_add_f64_e32 v[72:73], v[74:75], v[70:71]
	v_add_f64_e32 v[109:110], v[109:110], v[107:108]
	v_fma_f64 v[107:108], v[84:85], s[14:15], v[86:87]
	s_delay_alu instid0(VALU_DEP_4) | instskip(SKIP_1) | instid1(VALU_DEP_1)
	v_add_f64_e32 v[70:71], v[76:77], v[64:65]
	v_and_b32_e32 v64, 0xffff, v189
	v_lshl_add_u32 v64, v64, 4, v188
	s_delay_alu instid0(VALU_DEP_4)
	v_add_f64_e32 v[107:108], v[107:108], v[125:126]
	ds_store_b128 v64, v[60:63] offset:32
	ds_store_b128 v64, v[66:69] offset:48
	;; [unrolled: 1-line block ×11, first 2 shown]
	ds_store_b128 v64, v[0:3]
	ds_store_b128 v64, v[70:73] offset:192
.LBB0_13:
	s_or_b32 exec_lo, exec_lo, s33
	global_wb scope:SCOPE_SE
	s_wait_dscnt 0x0
	s_barrier_signal -1
	s_barrier_wait -1
	global_inv scope:SCOPE_SE
	ds_load_b128 v[0:3], v94 offset:624
	ds_load_b128 v[4:7], v94 offset:1040
	;; [unrolled: 1-line block ×6, first 2 shown]
	s_mov_b32 s10, 0x134454ff
	s_mov_b32 s11, 0xbfee6f0e
	;; [unrolled: 1-line block ×3, first 2 shown]
	s_wait_alu 0xfffe
	s_mov_b32 s4, s10
	s_mov_b32 s16, 0x4755a5e
	;; [unrolled: 1-line block ×4, first 2 shown]
	s_wait_alu 0xfffe
	s_mov_b32 s6, s16
	s_mov_b32 s14, 0x372fe950
	;; [unrolled: 1-line block ×6, first 2 shown]
	s_wait_alu 0xfffe
	s_mov_b32 s20, s14
	s_mov_b32 s23, 0xbfe9e377
	s_wait_dscnt 0x5
	v_mul_f64_e32 v[60:61], v[34:35], v[0:1]
	s_wait_dscnt 0x4
	v_mul_f64_e32 v[62:63], v[42:43], v[4:5]
	;; [unrolled: 2-line block ×5, first 2 shown]
	v_mul_f64_e32 v[34:35], v[34:35], v[2:3]
	v_mul_f64_e32 v[42:43], v[42:43], v[6:7]
	;; [unrolled: 1-line block ×5, first 2 shown]
	s_mov_b32 s22, s18
	v_fma_f64 v[74:75], v[32:33], v[2:3], -v[60:61]
	v_fma_f64 v[6:7], v[40:41], v[6:7], -v[62:63]
	;; [unrolled: 1-line block ×4, first 2 shown]
	ds_load_b128 v[60:63], v94 offset:832
	ds_load_b128 v[64:67], v94 offset:1248
	;; [unrolled: 1-line block ×3, first 2 shown]
	s_wait_dscnt 0x3
	v_mul_f64_e32 v[2:3], v[30:31], v[58:59]
	v_mul_f64_e32 v[30:31], v[30:31], v[56:57]
	v_fma_f64 v[32:33], v[32:33], v[0:1], v[34:35]
	v_fma_f64 v[4:5], v[40:41], v[4:5], v[42:43]
	;; [unrolled: 1-line block ×4, first 2 shown]
	v_fma_f64 v[36:37], v[12:13], v[54:55], -v[72:73]
	v_fma_f64 v[12:13], v[12:13], v[52:53], v[14:15]
	s_wait_dscnt 0x2
	v_mul_f64_e32 v[76:77], v[26:27], v[62:63]
	v_mul_f64_e32 v[26:27], v[26:27], v[60:61]
	s_wait_dscnt 0x1
	v_mul_f64_e32 v[78:79], v[22:23], v[66:67]
	s_wait_dscnt 0x0
	v_mul_f64_e32 v[80:81], v[18:19], v[70:71]
	v_mul_f64_e32 v[22:23], v[22:23], v[64:65]
	;; [unrolled: 1-line block ×3, first 2 shown]
	v_add_f64_e32 v[0:1], v[6:7], v[10:11]
	v_add_f64_e32 v[38:39], v[74:75], v[50:51]
	v_fma_f64 v[40:41], v[28:29], v[56:57], v[2:3]
	v_fma_f64 v[28:29], v[28:29], v[58:59], -v[30:31]
	v_add_f64_e64 v[58:59], v[74:75], -v[50:51]
	v_add_f64_e64 v[84:85], v[32:33], -v[4:5]
	v_add_f64_e32 v[14:15], v[4:5], v[8:9]
	v_add_f64_e64 v[44:45], v[4:5], -v[8:9]
	v_add_f64_e64 v[86:87], v[34:35], -v[8:9]
	;; [unrolled: 1-line block ×3, first 2 shown]
	v_fma_f64 v[30:31], v[24:25], v[60:61], v[76:77]
	v_fma_f64 v[24:25], v[24:25], v[62:63], -v[26:27]
	v_fma_f64 v[26:27], v[20:21], v[64:65], v[78:79]
	v_fma_f64 v[42:43], v[16:17], v[68:69], v[80:81]
	v_fma_f64 v[20:21], v[20:21], v[66:67], -v[22:23]
	v_fma_f64 v[16:17], v[16:17], v[70:71], -v[18:19]
	v_add_f64_e32 v[18:19], v[32:33], v[34:35]
	v_add_f64_e64 v[22:23], v[32:33], -v[34:35]
	v_add_f64_e64 v[60:61], v[74:75], -v[6:7]
	;; [unrolled: 1-line block ×6, first 2 shown]
	v_fma_f64 v[46:47], v[0:1], -0.5, v[36:37]
	v_fma_f64 v[38:39], v[38:39], -0.5, v[36:37]
	ds_load_b128 v[0:3], v94
	v_add_f64_e32 v[36:37], v[36:37], v[74:75]
	v_fma_f64 v[14:15], v[14:15], -0.5, v[12:13]
	v_add_f64_e64 v[91:92], v[28:29], -v[24:25]
	v_add_f64_e32 v[48:49], v[30:31], v[26:27]
	v_add_f64_e32 v[52:53], v[40:41], v[42:43]
	;; [unrolled: 1-line block ×4, first 2 shown]
	v_fma_f64 v[18:19], v[18:19], -0.5, v[12:13]
	s_wait_dscnt 0x0
	v_add_f64_e32 v[76:77], v[0:1], v[40:41]
	v_add_f64_e32 v[82:83], v[2:3], v[28:29]
	;; [unrolled: 1-line block ×3, first 2 shown]
	v_add_f64_e64 v[78:79], v[28:29], -v[16:17]
	v_add_f64_e64 v[80:81], v[24:25], -v[20:21]
	;; [unrolled: 1-line block ×7, first 2 shown]
	v_fma_f64 v[70:71], v[22:23], s[4:5], v[46:47]
	v_fma_f64 v[72:73], v[44:45], s[10:11], v[38:39]
	;; [unrolled: 1-line block ×4, first 2 shown]
	v_add_f64_e32 v[6:7], v[36:37], v[6:7]
	v_fma_f64 v[48:49], v[48:49], -0.5, v[0:1]
	v_fma_f64 v[0:1], v[52:53], -0.5, v[0:1]
	;; [unrolled: 1-line block ×4, first 2 shown]
	v_add_f64_e32 v[56:57], v[60:61], v[62:63]
	v_add_f64_e32 v[60:61], v[64:65], v[66:67]
	v_fma_f64 v[62:63], v[58:59], s[10:11], v[14:15]
	v_fma_f64 v[14:15], v[58:59], s[4:5], v[14:15]
	;; [unrolled: 1-line block ×4, first 2 shown]
	v_add_f64_e64 v[52:53], v[30:31], -v[26:27]
	v_add_f64_e32 v[24:25], v[82:83], v[24:25]
	v_add_f64_e32 v[4:5], v[12:13], v[4:5]
	;; [unrolled: 1-line block ×5, first 2 shown]
	v_fma_f64 v[66:67], v[44:45], s[6:7], v[70:71]
	v_fma_f64 v[70:71], v[22:23], s[6:7], v[72:73]
	;; [unrolled: 1-line block ×4, first 2 shown]
	v_add_f64_e64 v[44:45], v[40:41], -v[30:31]
	v_add_f64_e64 v[40:41], v[30:31], -v[40:41]
	v_add_f64_e32 v[30:31], v[76:77], v[30:31]
	v_add_f64_e64 v[46:47], v[42:43], -v[26:27]
	v_add_f64_e64 v[72:73], v[26:27], -v[42:43]
	v_add_f64_e32 v[6:7], v[6:7], v[10:11]
	v_fma_f64 v[36:37], v[78:79], s[10:11], v[48:49]
	v_fma_f64 v[48:49], v[78:79], s[4:5], v[48:49]
	;; [unrolled: 1-line block ×12, first 2 shown]
	v_add_f64_e32 v[20:21], v[24:25], v[20:21]
	v_add_f64_e32 v[4:5], v[4:5], v[8:9]
	v_fma_f64 v[58:59], v[56:57], s[14:15], v[66:67]
	v_fma_f64 v[66:67], v[60:61], s[14:15], v[70:71]
	;; [unrolled: 1-line block ×4, first 2 shown]
	v_add_f64_e32 v[26:27], v[30:31], v[26:27]
	v_add_f64_e32 v[44:45], v[44:45], v[46:47]
	;; [unrolled: 1-line block ×5, first 2 shown]
	v_fma_f64 v[8:9], v[80:81], s[16:17], v[36:37]
	v_fma_f64 v[10:11], v[80:81], s[6:7], v[48:49]
	;; [unrolled: 1-line block ×12, first 2 shown]
	v_add_f64_e32 v[16:17], v[20:21], v[16:17]
	v_add_f64_e32 v[4:5], v[4:5], v[34:35]
	v_mul_f64_e32 v[32:33], s[16:17], v[58:59]
	v_mul_f64_e32 v[58:59], s[18:19], v[58:59]
	;; [unrolled: 1-line block ×5, first 2 shown]
	s_wait_alu 0xfffe
	v_mul_f64_e32 v[22:23], s[20:21], v[22:23]
	v_mul_f64_e32 v[60:61], s[16:17], v[38:39]
	;; [unrolled: 1-line block ×3, first 2 shown]
	v_add_f64_e32 v[26:27], v[26:27], v[42:43]
	v_fma_f64 v[34:35], v[44:45], s[14:15], v[8:9]
	v_fma_f64 v[42:43], v[44:45], s[14:15], v[10:11]
	;; [unrolled: 1-line block ×8, first 2 shown]
	v_add_f64_e32 v[2:3], v[16:17], v[6:7]
	v_add_f64_e64 v[6:7], v[16:17], -v[6:7]
	v_fma_f64 v[24:25], v[52:53], s[18:19], v[32:33]
	v_fma_f64 v[52:53], v[52:53], s[6:7], v[58:59]
	;; [unrolled: 1-line block ×8, first 2 shown]
	v_add_f64_e32 v[0:1], v[26:27], v[4:5]
	v_add_f64_e64 v[4:5], v[26:27], -v[4:5]
	v_add_f64_e32 v[8:9], v[34:35], v[24:25]
	v_add_f64_e32 v[10:11], v[30:31], v[52:53]
	;; [unrolled: 1-line block ×8, first 2 shown]
	v_add_f64_e64 v[24:25], v[34:35], -v[24:25]
	v_add_f64_e64 v[26:27], v[30:31], -v[52:53]
	v_add_f64_e64 v[28:29], v[44:45], -v[28:29]
	v_add_f64_e64 v[30:31], v[48:49], -v[54:55]
	v_add_f64_e64 v[32:33], v[40:41], -v[32:33]
	v_add_f64_e64 v[34:35], v[50:51], -v[56:57]
	v_add_f64_e64 v[36:37], v[42:43], -v[36:37]
	v_add_f64_e64 v[38:39], v[46:47], -v[38:39]
	ds_store_b128 v93, v[0:3]
	ds_store_b128 v93, v[8:11] offset:208
	ds_store_b128 v93, v[12:15] offset:416
	;; [unrolled: 1-line block ×9, first 2 shown]
	global_wb scope:SCOPE_SE
	s_wait_dscnt 0x0
	s_barrier_signal -1
	s_barrier_wait -1
	global_inv scope:SCOPE_SE
	s_and_b32 exec_lo, exec_lo, vcc_lo
	s_cbranch_execz .LBB0_15
; %bb.14:
	s_clause 0xc
	global_load_b128 v[0:3], v187, s[12:13]
	global_load_b128 v[4:7], v187, s[12:13] offset:160
	global_load_b128 v[8:11], v187, s[12:13] offset:320
	;; [unrolled: 1-line block ×12, first 2 shown]
	v_mad_co_u64_u32 v[60:61], null, s0, v186, 0
	v_mad_co_u64_u32 v[52:53], null, s2, v88, 0
	s_mov_b32 s4, 0x1f81f820
	s_mov_b32 s5, 0x3f7f81f8
	s_delay_alu instid0(VALU_DEP_2) | instskip(NEXT) | instid1(VALU_DEP_1)
	v_mov_b32_e32 v54, v61
	v_mad_co_u64_u32 v[55:56], null, s3, v88, v[53:54]
	s_mul_u64 s[2:3], s[0:1], 0xa0
	s_delay_alu instid0(VALU_DEP_1) | instskip(SKIP_1) | instid1(VALU_DEP_2)
	v_mov_b32_e32 v53, v55
	v_mad_co_u64_u32 v[56:57], null, s1, v186, v[54:55]
	v_lshlrev_b64_e32 v[62:63], 4, v[52:53]
	s_delay_alu instid0(VALU_DEP_2)
	v_mov_b32_e32 v61, v56
	ds_load_b128 v[52:55], v93
	ds_load_b128 v[56:59], v93 offset:160
	v_add_co_u32 v148, vcc_lo, s8, v62
	v_add_co_ci_u32_e32 v149, vcc_lo, s9, v63, vcc_lo
	v_lshlrev_b64_e32 v[68:69], 4, v[60:61]
	ds_load_b128 v[60:63], v93 offset:320
	ds_load_b128 v[64:67], v93 offset:480
	v_add_co_u32 v106, vcc_lo, v148, v68
	s_wait_alu 0xfffd
	v_add_co_ci_u32_e32 v107, vcc_lo, v149, v69, vcc_lo
	ds_load_b128 v[68:71], v93 offset:640
	ds_load_b128 v[72:75], v93 offset:800
	;; [unrolled: 1-line block ×9, first 2 shown]
	s_wait_alu 0xfffe
	v_add_co_u32 v108, vcc_lo, v106, s2
	s_wait_alu 0xfffd
	v_add_co_ci_u32_e32 v109, vcc_lo, s3, v107, vcc_lo
	s_delay_alu instid0(VALU_DEP_2) | instskip(SKIP_1) | instid1(VALU_DEP_2)
	v_add_co_u32 v110, vcc_lo, v108, s2
	s_wait_alu 0xfffd
	v_add_co_ci_u32_e32 v111, vcc_lo, s3, v109, vcc_lo
	s_delay_alu instid0(VALU_DEP_2) | instskip(SKIP_1) | instid1(VALU_DEP_2)
	;; [unrolled: 4-line block ×6, first 2 shown]
	v_add_co_u32 v144, vcc_lo, v142, s2
	s_wait_alu 0xfffd
	v_add_co_ci_u32_e32 v145, vcc_lo, s3, v143, vcc_lo
	s_delay_alu instid0(VALU_DEP_1)
	v_mad_co_u64_u32 v[146:147], null, 0x140, s0, v[144:145]
	s_wait_loadcnt_dscnt 0xc0c
	v_mul_f64_e32 v[116:117], v[54:55], v[2:3]
	v_mul_f64_e32 v[2:3], v[52:53], v[2:3]
	s_wait_loadcnt_dscnt 0xb0b
	v_mul_f64_e32 v[118:119], v[58:59], v[6:7]
	v_mul_f64_e32 v[6:7], v[56:57], v[6:7]
	;; [unrolled: 3-line block ×13, first 2 shown]
	v_fma_f64 v[52:53], v[52:53], v[0:1], v[116:117]
	v_fma_f64 v[2:3], v[0:1], v[54:55], -v[2:3]
	v_mov_b32_e32 v0, v147
	v_fma_f64 v[54:55], v[56:57], v[4:5], v[118:119]
	v_fma_f64 v[6:7], v[4:5], v[58:59], -v[6:7]
	v_fma_f64 v[56:57], v[60:61], v[8:9], v[120:121]
	v_fma_f64 v[10:11], v[8:9], v[62:63], -v[10:11]
	;; [unrolled: 2-line block ×12, first 2 shown]
	v_mad_co_u64_u32 v[80:81], null, 0x140, s1, v[0:1]
	v_mad_co_u64_u32 v[78:79], null, s0, v185, 0
	s_delay_alu instid0(VALU_DEP_2) | instskip(SKIP_2) | instid1(VALU_DEP_4)
	v_mov_b32_e32 v147, v80
	v_mul_f64_e32 v[0:1], s[4:5], v[52:53]
	v_mul_f64_e32 v[2:3], s[4:5], v[2:3]
	v_mad_co_u64_u32 v[52:53], null, s1, v185, v[79:80]
	v_mul_f64_e32 v[4:5], s[4:5], v[54:55]
	v_mul_f64_e32 v[6:7], s[4:5], v[6:7]
	;; [unrolled: 1-line block ×24, first 2 shown]
	v_mov_b32_e32 v79, v52
	v_add_co_u32 v52, vcc_lo, v146, s2
	s_wait_alu 0xfffd
	v_add_co_ci_u32_e32 v53, vcc_lo, s3, v147, vcc_lo
	s_delay_alu instid0(VALU_DEP_3) | instskip(NEXT) | instid1(VALU_DEP_3)
	v_lshlrev_b64_e32 v[54:55], 4, v[78:79]
	v_add_co_u32 v56, vcc_lo, v52, s2
	s_wait_alu 0xfffd
	s_delay_alu instid0(VALU_DEP_3) | instskip(NEXT) | instid1(VALU_DEP_3)
	v_add_co_ci_u32_e32 v57, vcc_lo, s3, v53, vcc_lo
	v_add_co_u32 v54, vcc_lo, v148, v54
	s_wait_alu 0xfffd
	v_add_co_ci_u32_e32 v55, vcc_lo, v149, v55, vcc_lo
	v_add_co_u32 v58, vcc_lo, v56, s2
	s_wait_alu 0xfffd
	v_add_co_ci_u32_e32 v59, vcc_lo, s3, v57, vcc_lo
	s_clause 0x4
	global_store_b128 v[106:107], v[0:3], off
	global_store_b128 v[108:109], v[4:7], off
	;; [unrolled: 1-line block ×13, first 2 shown]
.LBB0_15:
	s_nop 0
	s_sendmsg sendmsg(MSG_DEALLOC_VGPRS)
	s_endpgm
	.section	.rodata,"a",@progbits
	.p2align	6, 0x0
	.amdhsa_kernel bluestein_single_back_len130_dim1_dp_op_CI_CI
		.amdhsa_group_segment_fixed_size 8320
		.amdhsa_private_segment_fixed_size 0
		.amdhsa_kernarg_size 104
		.amdhsa_user_sgpr_count 2
		.amdhsa_user_sgpr_dispatch_ptr 0
		.amdhsa_user_sgpr_queue_ptr 0
		.amdhsa_user_sgpr_kernarg_segment_ptr 1
		.amdhsa_user_sgpr_dispatch_id 0
		.amdhsa_user_sgpr_private_segment_size 0
		.amdhsa_wavefront_size32 1
		.amdhsa_uses_dynamic_stack 0
		.amdhsa_enable_private_segment 0
		.amdhsa_system_sgpr_workgroup_id_x 1
		.amdhsa_system_sgpr_workgroup_id_y 0
		.amdhsa_system_sgpr_workgroup_id_z 0
		.amdhsa_system_sgpr_workgroup_info 0
		.amdhsa_system_vgpr_workitem_id 0
		.amdhsa_next_free_vgpr 241
		.amdhsa_next_free_sgpr 46
		.amdhsa_reserve_vcc 1
		.amdhsa_float_round_mode_32 0
		.amdhsa_float_round_mode_16_64 0
		.amdhsa_float_denorm_mode_32 3
		.amdhsa_float_denorm_mode_16_64 3
		.amdhsa_fp16_overflow 0
		.amdhsa_workgroup_processor_mode 1
		.amdhsa_memory_ordered 1
		.amdhsa_forward_progress 0
		.amdhsa_round_robin_scheduling 0
		.amdhsa_exception_fp_ieee_invalid_op 0
		.amdhsa_exception_fp_denorm_src 0
		.amdhsa_exception_fp_ieee_div_zero 0
		.amdhsa_exception_fp_ieee_overflow 0
		.amdhsa_exception_fp_ieee_underflow 0
		.amdhsa_exception_fp_ieee_inexact 0
		.amdhsa_exception_int_div_zero 0
	.end_amdhsa_kernel
	.text
.Lfunc_end0:
	.size	bluestein_single_back_len130_dim1_dp_op_CI_CI, .Lfunc_end0-bluestein_single_back_len130_dim1_dp_op_CI_CI
                                        ; -- End function
	.section	.AMDGPU.csdata,"",@progbits
; Kernel info:
; codeLenInByte = 12864
; NumSgprs: 48
; NumVgprs: 241
; ScratchSize: 0
; MemoryBound: 0
; FloatMode: 240
; IeeeMode: 1
; LDSByteSize: 8320 bytes/workgroup (compile time only)
; SGPRBlocks: 5
; VGPRBlocks: 30
; NumSGPRsForWavesPerEU: 48
; NumVGPRsForWavesPerEU: 241
; Occupancy: 5
; WaveLimiterHint : 1
; COMPUTE_PGM_RSRC2:SCRATCH_EN: 0
; COMPUTE_PGM_RSRC2:USER_SGPR: 2
; COMPUTE_PGM_RSRC2:TRAP_HANDLER: 0
; COMPUTE_PGM_RSRC2:TGID_X_EN: 1
; COMPUTE_PGM_RSRC2:TGID_Y_EN: 0
; COMPUTE_PGM_RSRC2:TGID_Z_EN: 0
; COMPUTE_PGM_RSRC2:TIDIG_COMP_CNT: 0
	.text
	.p2alignl 7, 3214868480
	.fill 96, 4, 3214868480
	.type	__hip_cuid_361e89dbe4e16722,@object ; @__hip_cuid_361e89dbe4e16722
	.section	.bss,"aw",@nobits
	.globl	__hip_cuid_361e89dbe4e16722
__hip_cuid_361e89dbe4e16722:
	.byte	0                               ; 0x0
	.size	__hip_cuid_361e89dbe4e16722, 1

	.ident	"AMD clang version 19.0.0git (https://github.com/RadeonOpenCompute/llvm-project roc-6.4.0 25133 c7fe45cf4b819c5991fe208aaa96edf142730f1d)"
	.section	".note.GNU-stack","",@progbits
	.addrsig
	.addrsig_sym __hip_cuid_361e89dbe4e16722
	.amdgpu_metadata
---
amdhsa.kernels:
  - .args:
      - .actual_access:  read_only
        .address_space:  global
        .offset:         0
        .size:           8
        .value_kind:     global_buffer
      - .actual_access:  read_only
        .address_space:  global
        .offset:         8
        .size:           8
        .value_kind:     global_buffer
      - .actual_access:  read_only
        .address_space:  global
        .offset:         16
        .size:           8
        .value_kind:     global_buffer
      - .actual_access:  read_only
        .address_space:  global
        .offset:         24
        .size:           8
        .value_kind:     global_buffer
      - .actual_access:  read_only
        .address_space:  global
        .offset:         32
        .size:           8
        .value_kind:     global_buffer
      - .offset:         40
        .size:           8
        .value_kind:     by_value
      - .address_space:  global
        .offset:         48
        .size:           8
        .value_kind:     global_buffer
      - .address_space:  global
        .offset:         56
        .size:           8
        .value_kind:     global_buffer
      - .address_space:  global
        .offset:         64
        .size:           8
        .value_kind:     global_buffer
      - .address_space:  global
        .offset:         72
        .size:           8
        .value_kind:     global_buffer
      - .offset:         80
        .size:           4
        .value_kind:     by_value
      - .address_space:  global
        .offset:         88
        .size:           8
        .value_kind:     global_buffer
      - .address_space:  global
        .offset:         96
        .size:           8
        .value_kind:     global_buffer
    .group_segment_fixed_size: 8320
    .kernarg_segment_align: 8
    .kernarg_segment_size: 104
    .language:       OpenCL C
    .language_version:
      - 2
      - 0
    .max_flat_workgroup_size: 52
    .name:           bluestein_single_back_len130_dim1_dp_op_CI_CI
    .private_segment_fixed_size: 0
    .sgpr_count:     48
    .sgpr_spill_count: 0
    .symbol:         bluestein_single_back_len130_dim1_dp_op_CI_CI.kd
    .uniform_work_group_size: 1
    .uses_dynamic_stack: false
    .vgpr_count:     241
    .vgpr_spill_count: 0
    .wavefront_size: 32
    .workgroup_processor_mode: 1
amdhsa.target:   amdgcn-amd-amdhsa--gfx1201
amdhsa.version:
  - 1
  - 2
...

	.end_amdgpu_metadata
